;; amdgpu-corpus repo=ROCm/rocBLAS kind=compiled arch=gfx906 opt=O3
	.amdgcn_target "amdgcn-amd-amdhsa--gfx906"
	.amdhsa_code_object_version 6
	.section	.text._ZL32rocblas_iamax_iamin_kernel_part1ILi1024E23rocblas_fetch_amax_aminIfE19rocblas_reduce_amaxPKf21rocblas_index_value_tIfEEviiT2_liliPT3_,"axG",@progbits,_ZL32rocblas_iamax_iamin_kernel_part1ILi1024E23rocblas_fetch_amax_aminIfE19rocblas_reduce_amaxPKf21rocblas_index_value_tIfEEviiT2_liliPT3_,comdat
	.globl	_ZL32rocblas_iamax_iamin_kernel_part1ILi1024E23rocblas_fetch_amax_aminIfE19rocblas_reduce_amaxPKf21rocblas_index_value_tIfEEviiT2_liliPT3_ ; -- Begin function _ZL32rocblas_iamax_iamin_kernel_part1ILi1024E23rocblas_fetch_amax_aminIfE19rocblas_reduce_amaxPKf21rocblas_index_value_tIfEEviiT2_liliPT3_
	.p2align	8
	.type	_ZL32rocblas_iamax_iamin_kernel_part1ILi1024E23rocblas_fetch_amax_aminIfE19rocblas_reduce_amaxPKf21rocblas_index_value_tIfEEviiT2_liliPT3_,@function
_ZL32rocblas_iamax_iamin_kernel_part1ILi1024E23rocblas_fetch_amax_aminIfE19rocblas_reduce_amaxPKf21rocblas_index_value_tIfEEviiT2_liliPT3_: ; @_ZL32rocblas_iamax_iamin_kernel_part1ILi1024E23rocblas_fetch_amax_aminIfE19rocblas_reduce_amaxPKf21rocblas_index_value_tIfEEviiT2_liliPT3_
; %bb.0:
	s_load_dwordx2 s[10:11], s[4:5], 0x0
	v_lshl_or_b32 v1, s6, 10, v0
	v_mov_b32_e32 v2, 0
                                        ; implicit-def: $vgpr3
	s_waitcnt lgkmcnt(0)
	s_ashr_i32 s1, s10, 31
	s_mov_b32 s0, s10
	v_cmp_gt_i64_e32 vcc, s[0:1], v[1:2]
	s_and_saveexec_b64 s[0:1], vcc
	s_cbranch_execz .LBB0_2
; %bb.1:
	s_load_dword s8, s[4:5], 0x18
	s_load_dwordx2 s[2:3], s[4:5], 0x20
	s_load_dwordx4 s[12:15], s[4:5], 0x8
	s_waitcnt lgkmcnt(0)
	s_ashr_i32 s10, s8, 31
	s_mul_i32 s3, s3, s7
	s_mul_hi_u32 s9, s2, s7
	s_add_i32 s3, s9, s3
	v_mad_u64_u32 v[2:3], s[8:9], s8, v1, 0
	s_mul_i32 s2, s2, s7
	s_lshl_b64 s[2:3], s[2:3], 2
	s_add_u32 s8, s12, s2
	s_addc_u32 s9, s13, s3
	v_mad_u64_u32 v[3:4], s[2:3], s10, v1, v[3:4]
	s_lshl_b64 s[2:3], s[14:15], 2
	s_add_u32 s2, s8, s2
	v_lshlrev_b64 v[2:3], 2, v[2:3]
	s_addc_u32 s3, s9, s3
	v_mov_b32_e32 v4, s3
	v_add_co_u32_e32 v2, vcc, s2, v2
	v_addc_co_u32_e32 v3, vcc, v4, v3, vcc
	global_load_dword v3, v[2:3], off
	v_add_u32_e32 v2, 1, v1
	s_waitcnt vmcnt(0)
	v_cmp_gt_f32_e32 vcc, 0, v3
	v_cndmask_b32_e64 v3, v3, -v3, vcc
.LBB0_2:
	s_or_b64 exec, exec, s[0:1]
	v_and_b32_e32 v1, 63, v0
	v_cmp_gt_u32_e32 vcc, 64, v0
	v_lshlrev_b32_e32 v4, 3, v1
	s_and_saveexec_b64 s[0:1], vcc
; %bb.3:
	v_mov_b32_e32 v5, 0
	v_mov_b32_e32 v6, v5
	ds_write_b64 v4, v[5:6]
; %bb.4:
	s_or_b64 exec, exec, s[0:1]
	v_mbcnt_lo_u32_b32 v5, -1, 0
	v_mbcnt_hi_u32_b32 v5, -1, v5
	v_mov_b32_e32 v6, 0x80
	v_lshl_or_b32 v7, v5, 2, v6
	ds_bpermute_b32 v6, v7, v2
	ds_bpermute_b32 v7, v7, v3
	s_waitcnt lgkmcnt(0)
	s_barrier
	v_cmp_ne_u32_e64 s[0:1], 0, v6
	s_and_saveexec_b64 s[12:13], s[0:1]
; %bb.5:
	v_cmp_eq_u32_e64 s[0:1], 0, v2
	v_cmp_lt_f32_e64 s[2:3], v3, v7
	v_min_i32_e32 v8, v6, v2
	v_cmp_eq_f32_e64 s[8:9], v3, v7
	v_cndmask_b32_e64 v2, v2, v8, s[8:9]
	s_or_b64 s[0:1], s[0:1], s[2:3]
	v_cndmask_b32_e64 v2, v2, v6, s[0:1]
	v_cndmask_b32_e64 v3, v3, v7, s[0:1]
; %bb.6:
	s_or_b64 exec, exec, s[12:13]
	v_and_b32_e32 v9, 63, v5
	v_cmp_gt_u32_e64 s[0:1], 48, v9
	v_cndmask_b32_e64 v6, 0, 16, s[0:1]
	v_add_lshl_u32 v7, v6, v5, 2
	ds_bpermute_b32 v6, v7, v2
	ds_bpermute_b32 v7, v7, v3
	v_mov_b32_e32 v10, v3
	s_waitcnt lgkmcnt(1)
	v_cmp_ne_u32_e64 s[0:1], 0, v6
	s_and_saveexec_b64 s[8:9], s[0:1]
	s_cbranch_execz .LBB0_10
; %bb.7:
	v_cmp_ne_u32_e64 s[0:1], 0, v2
	s_waitcnt lgkmcnt(0)
	v_cmp_nlt_f32_e64 s[2:3], v3, v7
	s_and_b64 s[0:1], s[0:1], s[2:3]
	s_and_saveexec_b64 s[2:3], s[0:1]
; %bb.8:
	v_min_i32_e32 v6, v6, v2
	v_cmp_eq_f32_e64 s[0:1], v3, v7
	v_cndmask_b32_e64 v6, v2, v6, s[0:1]
	v_mov_b32_e32 v7, v3
; %bb.9:
	s_or_b64 exec, exec, s[2:3]
	v_mov_b32_e32 v3, v7
	v_mov_b32_e32 v2, v6
	;; [unrolled: 1-line block ×3, first 2 shown]
.LBB0_10:
	s_or_b64 exec, exec, s[8:9]
	v_cmp_gt_u32_e64 s[0:1], 56, v9
	v_cndmask_b32_e64 v6, 0, 8, s[0:1]
	v_add_lshl_u32 v6, v6, v5, 2
	s_waitcnt lgkmcnt(0)
	ds_bpermute_b32 v7, v6, v2
	ds_bpermute_b32 v8, v6, v3
	s_waitcnt lgkmcnt(1)
	v_cmp_ne_u32_e64 s[0:1], 0, v7
	s_and_saveexec_b64 s[8:9], s[0:1]
	s_cbranch_execz .LBB0_14
; %bb.11:
	v_cmp_ne_u32_e64 s[0:1], 0, v2
	s_waitcnt lgkmcnt(0)
	v_cmp_nlt_f32_e64 s[2:3], v10, v8
	s_and_b64 s[0:1], s[0:1], s[2:3]
	v_mov_b32_e32 v11, v8
	s_and_saveexec_b64 s[2:3], s[0:1]
; %bb.12:
	v_min_i32_e32 v7, v7, v2
	v_cmp_eq_f32_e64 s[0:1], v10, v8
	v_cndmask_b32_e64 v7, v2, v7, s[0:1]
	v_mov_b32_e32 v11, v10
	v_mov_b32_e32 v8, v3
; %bb.13:
	s_or_b64 exec, exec, s[2:3]
	v_mov_b32_e32 v3, v8
	v_mov_b32_e32 v2, v7
	v_mov_b32_e32 v10, v11
.LBB0_14:
	s_or_b64 exec, exec, s[8:9]
	v_cmp_gt_u32_e64 s[0:1], 60, v9
	v_cndmask_b32_e64 v7, 0, 4, s[0:1]
	v_add_lshl_u32 v7, v7, v5, 2
	s_waitcnt lgkmcnt(0)
	ds_bpermute_b32 v8, v7, v2
	ds_bpermute_b32 v11, v7, v3
	s_waitcnt lgkmcnt(1)
	v_cmp_ne_u32_e64 s[0:1], 0, v8
	s_and_saveexec_b64 s[8:9], s[0:1]
	s_cbranch_execz .LBB0_18
; %bb.15:
	v_cmp_ne_u32_e64 s[0:1], 0, v2
	s_waitcnt lgkmcnt(0)
	v_cmp_nlt_f32_e64 s[2:3], v10, v11
	s_and_b64 s[0:1], s[0:1], s[2:3]
	v_mov_b32_e32 v12, v11
	s_and_saveexec_b64 s[2:3], s[0:1]
; %bb.16:
	v_min_i32_e32 v8, v8, v2
	v_cmp_eq_f32_e64 s[0:1], v10, v11
	v_cndmask_b32_e64 v8, v2, v8, s[0:1]
	v_mov_b32_e32 v12, v10
	v_mov_b32_e32 v11, v3
; %bb.17:
	s_or_b64 exec, exec, s[2:3]
	v_mov_b32_e32 v3, v11
	v_mov_b32_e32 v2, v8
	v_mov_b32_e32 v10, v12
.LBB0_18:
	;; [unrolled: 30-line block ×3, first 2 shown]
	s_or_b64 exec, exec, s[8:9]
	v_cmp_ne_u32_e64 s[0:1], 63, v9
	v_addc_co_u32_e64 v5, s[0:1], 0, v5, s[0:1]
	v_lshlrev_b32_e32 v5, 2, v5
	ds_bpermute_b32 v9, v5, v2
	ds_bpermute_b32 v11, v5, v3
	s_waitcnt lgkmcnt(1)
	v_cmp_ne_u32_e64 s[0:1], 0, v9
	s_and_saveexec_b64 s[12:13], s[0:1]
	s_cbranch_execz .LBB0_24
; %bb.23:
	v_cmp_eq_u32_e64 s[0:1], 0, v2
	s_waitcnt lgkmcnt(0)
	v_cmp_lt_f32_e64 s[2:3], v10, v11
	v_min_i32_e32 v12, v9, v2
	v_cmp_eq_f32_e64 s[8:9], v10, v11
	v_cndmask_b32_e64 v2, v2, v12, s[8:9]
	s_or_b64 s[0:1], s[0:1], s[2:3]
	v_cndmask_b32_e64 v3, v3, v11, s[0:1]
	v_cndmask_b32_e64 v2, v2, v9, s[0:1]
.LBB0_24:
	s_or_b64 exec, exec, s[12:13]
	v_cmp_eq_u32_e64 s[0:1], 0, v1
	s_and_saveexec_b64 s[2:3], s[0:1]
; %bb.25:
	v_lshrrev_b32_e32 v1, 3, v0
	v_and_b32_e32 v1, 0x78, v1
	ds_write_b64 v1, v[2:3]
; %bb.26:
	s_or_b64 exec, exec, s[2:3]
	v_cmp_gt_u32_e64 s[0:1], 16, v0
	v_mov_b32_e32 v1, 0
	v_mov_b32_e32 v2, 0
	s_waitcnt lgkmcnt(0)
	s_barrier
	s_and_saveexec_b64 s[2:3], s[0:1]
; %bb.27:
	ds_read_b64 v[1:2], v4
; %bb.28:
	s_or_b64 exec, exec, s[2:3]
	s_and_saveexec_b64 s[8:9], vcc
	s_cbranch_execz .LBB0_42
; %bb.29:
	s_waitcnt lgkmcnt(0)
	ds_bpermute_b32 v3, v6, v1
	ds_bpermute_b32 v4, v6, v2
	s_waitcnt lgkmcnt(1)
	v_cmp_ne_u32_e32 vcc, 0, v3
	s_and_saveexec_b64 s[12:13], vcc
	s_cbranch_execz .LBB0_31
; %bb.30:
	v_cmp_eq_u32_e32 vcc, 0, v1
	s_waitcnt lgkmcnt(0)
	v_cmp_lt_f32_e64 s[0:1], v2, v4
	v_min_i32_e32 v6, v3, v1
	v_cmp_eq_f32_e64 s[2:3], v2, v4
	v_cndmask_b32_e64 v1, v1, v6, s[2:3]
	s_or_b64 vcc, vcc, s[0:1]
	v_cndmask_b32_e32 v1, v1, v3, vcc
	v_cndmask_b32_e32 v2, v2, v4, vcc
.LBB0_31:
	s_or_b64 exec, exec, s[12:13]
	s_waitcnt lgkmcnt(0)
	ds_bpermute_b32 v4, v7, v1
	ds_bpermute_b32 v6, v7, v2
	v_mov_b32_e32 v3, v2
	s_waitcnt lgkmcnt(1)
	v_cmp_ne_u32_e32 vcc, 0, v4
	s_and_saveexec_b64 s[2:3], vcc
	s_cbranch_execz .LBB0_35
; %bb.32:
	v_cmp_ne_u32_e32 vcc, 0, v1
	s_waitcnt lgkmcnt(0)
	v_cmp_nlt_f32_e64 s[0:1], v2, v6
	s_and_b64 s[12:13], vcc, s[0:1]
	s_and_saveexec_b64 s[0:1], s[12:13]
; %bb.33:
	v_min_i32_e32 v3, v4, v1
	v_cmp_eq_f32_e32 vcc, v2, v6
	v_cndmask_b32_e32 v4, v1, v3, vcc
	v_mov_b32_e32 v6, v2
; %bb.34:
	s_or_b64 exec, exec, s[0:1]
	v_mov_b32_e32 v2, v6
	v_mov_b32_e32 v1, v4
	;; [unrolled: 1-line block ×3, first 2 shown]
.LBB0_35:
	s_or_b64 exec, exec, s[2:3]
	ds_bpermute_b32 v4, v8, v1
	s_waitcnt lgkmcnt(1)
	ds_bpermute_b32 v6, v8, v2
	s_waitcnt lgkmcnt(1)
	v_cmp_ne_u32_e32 vcc, 0, v4
	s_and_saveexec_b64 s[2:3], vcc
	s_cbranch_execz .LBB0_39
; %bb.36:
	v_cmp_ne_u32_e32 vcc, 0, v1
	s_waitcnt lgkmcnt(0)
	v_cmp_nlt_f32_e64 s[0:1], v3, v6
	s_and_b64 s[12:13], vcc, s[0:1]
	v_mov_b32_e32 v7, v6
	s_and_saveexec_b64 s[0:1], s[12:13]
; %bb.37:
	v_min_i32_e32 v4, v4, v1
	v_cmp_eq_f32_e32 vcc, v3, v6
	v_cndmask_b32_e32 v4, v1, v4, vcc
	v_mov_b32_e32 v7, v3
	v_mov_b32_e32 v6, v2
; %bb.38:
	s_or_b64 exec, exec, s[0:1]
	v_mov_b32_e32 v2, v6
	v_mov_b32_e32 v1, v4
	;; [unrolled: 1-line block ×3, first 2 shown]
.LBB0_39:
	s_or_b64 exec, exec, s[2:3]
	ds_bpermute_b32 v4, v5, v1
	ds_bpermute_b32 v5, v5, v2
	s_waitcnt lgkmcnt(1)
	v_cmp_ne_u32_e32 vcc, 0, v4
	s_and_saveexec_b64 s[12:13], vcc
	s_cbranch_execz .LBB0_41
; %bb.40:
	v_cmp_eq_u32_e32 vcc, 0, v1
	s_waitcnt lgkmcnt(0)
	v_cmp_lt_f32_e64 s[0:1], v3, v5
	v_min_i32_e32 v6, v4, v1
	v_cmp_eq_f32_e64 s[2:3], v3, v5
	v_cndmask_b32_e64 v1, v1, v6, s[2:3]
	s_or_b64 vcc, vcc, s[0:1]
	v_cndmask_b32_e32 v2, v2, v5, vcc
	v_cndmask_b32_e32 v1, v1, v4, vcc
.LBB0_41:
	s_or_b64 exec, exec, s[12:13]
.LBB0_42:
	s_or_b64 exec, exec, s[8:9]
	s_mov_b32 s1, 0
	v_cmp_eq_u32_e32 vcc, 0, v0
	s_and_saveexec_b64 s[2:3], vcc
	s_cbranch_execz .LBB0_44
; %bb.43:
	s_load_dwordx2 s[2:3], s[4:5], 0x30
	s_mul_i32 s0, s11, s7
	s_add_i32 s0, s0, s6
	s_lshl_b64 s[0:1], s[0:1], 3
	v_mov_b32_e32 v0, 0
	s_waitcnt lgkmcnt(0)
	s_add_u32 s0, s2, s0
	s_addc_u32 s1, s3, s1
	global_store_dwordx2 v0, v[1:2], s[0:1]
.LBB0_44:
	s_endpgm
	.section	.rodata,"a",@progbits
	.p2align	6, 0x0
	.amdhsa_kernel _ZL32rocblas_iamax_iamin_kernel_part1ILi1024E23rocblas_fetch_amax_aminIfE19rocblas_reduce_amaxPKf21rocblas_index_value_tIfEEviiT2_liliPT3_
		.amdhsa_group_segment_fixed_size 512
		.amdhsa_private_segment_fixed_size 0
		.amdhsa_kernarg_size 56
		.amdhsa_user_sgpr_count 6
		.amdhsa_user_sgpr_private_segment_buffer 1
		.amdhsa_user_sgpr_dispatch_ptr 0
		.amdhsa_user_sgpr_queue_ptr 0
		.amdhsa_user_sgpr_kernarg_segment_ptr 1
		.amdhsa_user_sgpr_dispatch_id 0
		.amdhsa_user_sgpr_flat_scratch_init 0
		.amdhsa_user_sgpr_private_segment_size 0
		.amdhsa_uses_dynamic_stack 0
		.amdhsa_system_sgpr_private_segment_wavefront_offset 0
		.amdhsa_system_sgpr_workgroup_id_x 1
		.amdhsa_system_sgpr_workgroup_id_y 0
		.amdhsa_system_sgpr_workgroup_id_z 1
		.amdhsa_system_sgpr_workgroup_info 0
		.amdhsa_system_vgpr_workitem_id 0
		.amdhsa_next_free_vgpr 14
		.amdhsa_next_free_sgpr 16
		.amdhsa_reserve_vcc 1
		.amdhsa_reserve_flat_scratch 0
		.amdhsa_float_round_mode_32 0
		.amdhsa_float_round_mode_16_64 0
		.amdhsa_float_denorm_mode_32 3
		.amdhsa_float_denorm_mode_16_64 3
		.amdhsa_dx10_clamp 1
		.amdhsa_ieee_mode 1
		.amdhsa_fp16_overflow 0
		.amdhsa_exception_fp_ieee_invalid_op 0
		.amdhsa_exception_fp_denorm_src 0
		.amdhsa_exception_fp_ieee_div_zero 0
		.amdhsa_exception_fp_ieee_overflow 0
		.amdhsa_exception_fp_ieee_underflow 0
		.amdhsa_exception_fp_ieee_inexact 0
		.amdhsa_exception_int_div_zero 0
	.end_amdhsa_kernel
	.section	.text._ZL32rocblas_iamax_iamin_kernel_part1ILi1024E23rocblas_fetch_amax_aminIfE19rocblas_reduce_amaxPKf21rocblas_index_value_tIfEEviiT2_liliPT3_,"axG",@progbits,_ZL32rocblas_iamax_iamin_kernel_part1ILi1024E23rocblas_fetch_amax_aminIfE19rocblas_reduce_amaxPKf21rocblas_index_value_tIfEEviiT2_liliPT3_,comdat
.Lfunc_end0:
	.size	_ZL32rocblas_iamax_iamin_kernel_part1ILi1024E23rocblas_fetch_amax_aminIfE19rocblas_reduce_amaxPKf21rocblas_index_value_tIfEEviiT2_liliPT3_, .Lfunc_end0-_ZL32rocblas_iamax_iamin_kernel_part1ILi1024E23rocblas_fetch_amax_aminIfE19rocblas_reduce_amaxPKf21rocblas_index_value_tIfEEviiT2_liliPT3_
                                        ; -- End function
	.set _ZL32rocblas_iamax_iamin_kernel_part1ILi1024E23rocblas_fetch_amax_aminIfE19rocblas_reduce_amaxPKf21rocblas_index_value_tIfEEviiT2_liliPT3_.num_vgpr, 14
	.set _ZL32rocblas_iamax_iamin_kernel_part1ILi1024E23rocblas_fetch_amax_aminIfE19rocblas_reduce_amaxPKf21rocblas_index_value_tIfEEviiT2_liliPT3_.num_agpr, 0
	.set _ZL32rocblas_iamax_iamin_kernel_part1ILi1024E23rocblas_fetch_amax_aminIfE19rocblas_reduce_amaxPKf21rocblas_index_value_tIfEEviiT2_liliPT3_.numbered_sgpr, 16
	.set _ZL32rocblas_iamax_iamin_kernel_part1ILi1024E23rocblas_fetch_amax_aminIfE19rocblas_reduce_amaxPKf21rocblas_index_value_tIfEEviiT2_liliPT3_.num_named_barrier, 0
	.set _ZL32rocblas_iamax_iamin_kernel_part1ILi1024E23rocblas_fetch_amax_aminIfE19rocblas_reduce_amaxPKf21rocblas_index_value_tIfEEviiT2_liliPT3_.private_seg_size, 0
	.set _ZL32rocblas_iamax_iamin_kernel_part1ILi1024E23rocblas_fetch_amax_aminIfE19rocblas_reduce_amaxPKf21rocblas_index_value_tIfEEviiT2_liliPT3_.uses_vcc, 1
	.set _ZL32rocblas_iamax_iamin_kernel_part1ILi1024E23rocblas_fetch_amax_aminIfE19rocblas_reduce_amaxPKf21rocblas_index_value_tIfEEviiT2_liliPT3_.uses_flat_scratch, 0
	.set _ZL32rocblas_iamax_iamin_kernel_part1ILi1024E23rocblas_fetch_amax_aminIfE19rocblas_reduce_amaxPKf21rocblas_index_value_tIfEEviiT2_liliPT3_.has_dyn_sized_stack, 0
	.set _ZL32rocblas_iamax_iamin_kernel_part1ILi1024E23rocblas_fetch_amax_aminIfE19rocblas_reduce_amaxPKf21rocblas_index_value_tIfEEviiT2_liliPT3_.has_recursion, 0
	.set _ZL32rocblas_iamax_iamin_kernel_part1ILi1024E23rocblas_fetch_amax_aminIfE19rocblas_reduce_amaxPKf21rocblas_index_value_tIfEEviiT2_liliPT3_.has_indirect_call, 0
	.section	.AMDGPU.csdata,"",@progbits
; Kernel info:
; codeLenInByte = 1568
; TotalNumSgprs: 20
; NumVgprs: 14
; ScratchSize: 0
; MemoryBound: 0
; FloatMode: 240
; IeeeMode: 1
; LDSByteSize: 512 bytes/workgroup (compile time only)
; SGPRBlocks: 2
; VGPRBlocks: 3
; NumSGPRsForWavesPerEU: 20
; NumVGPRsForWavesPerEU: 14
; Occupancy: 10
; WaveLimiterHint : 0
; COMPUTE_PGM_RSRC2:SCRATCH_EN: 0
; COMPUTE_PGM_RSRC2:USER_SGPR: 6
; COMPUTE_PGM_RSRC2:TRAP_HANDLER: 0
; COMPUTE_PGM_RSRC2:TGID_X_EN: 1
; COMPUTE_PGM_RSRC2:TGID_Y_EN: 0
; COMPUTE_PGM_RSRC2:TGID_Z_EN: 1
; COMPUTE_PGM_RSRC2:TIDIG_COMP_CNT: 0
	.section	.text._ZL32rocblas_iamax_iamin_kernel_part2ILi1024E19rocblas_reduce_amax21rocblas_index_value_tIfEiEviPT1_PT2_,"axG",@progbits,_ZL32rocblas_iamax_iamin_kernel_part2ILi1024E19rocblas_reduce_amax21rocblas_index_value_tIfEiEviPT1_PT2_,comdat
	.globl	_ZL32rocblas_iamax_iamin_kernel_part2ILi1024E19rocblas_reduce_amax21rocblas_index_value_tIfEiEviPT1_PT2_ ; -- Begin function _ZL32rocblas_iamax_iamin_kernel_part2ILi1024E19rocblas_reduce_amax21rocblas_index_value_tIfEiEviPT1_PT2_
	.p2align	8
	.type	_ZL32rocblas_iamax_iamin_kernel_part2ILi1024E19rocblas_reduce_amax21rocblas_index_value_tIfEiEviPT1_PT2_,@function
_ZL32rocblas_iamax_iamin_kernel_part2ILi1024E19rocblas_reduce_amax21rocblas_index_value_tIfEiEviPT1_PT2_: ; @_ZL32rocblas_iamax_iamin_kernel_part2ILi1024E19rocblas_reduce_amax21rocblas_index_value_tIfEiEviPT1_PT2_
; %bb.0:
	s_load_dword s7, s[4:5], 0x0
	s_load_dwordx4 s[8:11], s[4:5], 0x8
	v_mov_b32_e32 v1, 0
	s_waitcnt lgkmcnt(0)
	v_cmp_gt_i32_e32 vcc, s7, v0
	s_and_saveexec_b64 s[2:3], vcc
	s_cbranch_execz .LBB1_10
; %bb.1:
	s_mul_i32 s0, s7, s6
	s_mov_b32 s1, 0
	s_lshl_b64 s[0:1], s[0:1], 3
	s_add_u32 s4, s8, s0
	s_addc_u32 s5, s9, s1
	v_lshlrev_b32_e32 v3, 3, v0
	global_load_dwordx2 v[1:2], v3, s[4:5]
	v_or_b32_e32 v5, 0x400, v0
	v_cmp_gt_u32_e32 vcc, s7, v5
	s_and_saveexec_b64 s[4:5], vcc
	s_cbranch_execz .LBB1_9
; %bb.2:
	s_add_u32 s0, s8, s0
	s_addc_u32 s1, s9, s1
	v_mov_b32_e32 v4, s1
	v_add_co_u32_e32 v3, vcc, s0, v3
	v_addc_co_u32_e32 v4, vcc, 0, v4, vcc
	v_add_co_u32_e32 v3, vcc, 0x2004, v3
	v_addc_co_u32_e32 v4, vcc, 0, v4, vcc
	s_mov_b64 s[8:9], 0
	s_branch .LBB1_5
.LBB1_3:                                ;   in Loop: Header=BB1_5 Depth=1
	s_or_b64 exec, exec, s[0:1]
	v_mov_b32_e32 v1, v6
	v_mov_b32_e32 v2, v7
.LBB1_4:                                ;   in Loop: Header=BB1_5 Depth=1
	s_or_b64 exec, exec, s[12:13]
	v_add_u32_e32 v5, 0x400, v5
	v_add_co_u32_e32 v3, vcc, 0x2000, v3
	v_cmp_le_i32_e64 s[0:1], s7, v5
	s_or_b64 s[8:9], s[0:1], s[8:9]
	v_addc_co_u32_e32 v4, vcc, 0, v4, vcc
	s_andn2_b64 exec, exec, s[8:9]
	s_cbranch_execz .LBB1_8
.LBB1_5:                                ; =>This Inner Loop Header: Depth=1
	global_load_dword v6, v[3:4], off offset:-4
	s_waitcnt vmcnt(0)
	v_cmp_ne_u32_e32 vcc, 0, v6
	s_and_saveexec_b64 s[12:13], vcc
	s_cbranch_execz .LBB1_4
; %bb.6:                                ;   in Loop: Header=BB1_5 Depth=1
	global_load_dword v7, v[3:4], off
	v_cmp_ne_u32_e32 vcc, 0, v1
	s_waitcnt vmcnt(0)
	v_cmp_ngt_f32_e64 s[0:1], v7, v2
	s_and_b64 s[14:15], vcc, s[0:1]
	s_and_saveexec_b64 s[0:1], s[14:15]
	s_cbranch_execz .LBB1_3
; %bb.7:                                ;   in Loop: Header=BB1_5 Depth=1
	v_min_i32_e32 v6, v6, v1
	v_cmp_eq_f32_e32 vcc, v2, v7
	v_cndmask_b32_e32 v6, v1, v6, vcc
	v_mov_b32_e32 v7, v2
	s_branch .LBB1_3
.LBB1_8:
	s_or_b64 exec, exec, s[8:9]
.LBB1_9:
	s_or_b64 exec, exec, s[4:5]
.LBB1_10:
	s_or_b64 exec, exec, s[2:3]
	v_and_b32_e32 v4, 63, v0
	v_cmp_gt_u32_e32 vcc, 64, v0
	v_lshlrev_b32_e32 v3, 3, v4
	s_and_saveexec_b64 s[0:1], vcc
; %bb.11:
	v_mov_b32_e32 v5, 0
	v_mov_b32_e32 v6, v5
	ds_write_b64 v3, v[5:6]
; %bb.12:
	s_or_b64 exec, exec, s[0:1]
	v_mbcnt_lo_u32_b32 v5, -1, 0
	v_mbcnt_hi_u32_b32 v5, -1, v5
	v_mov_b32_e32 v6, 0x80
	v_lshl_or_b32 v7, v5, 2, v6
	s_waitcnt vmcnt(0)
	ds_bpermute_b32 v6, v7, v1
	ds_bpermute_b32 v7, v7, v2
	v_mov_b32_e32 v10, v2
	s_waitcnt lgkmcnt(0)
	s_barrier
	v_cmp_ne_u32_e64 s[0:1], 0, v6
	s_and_saveexec_b64 s[8:9], s[0:1]
; %bb.13:
	v_cmp_eq_u32_e64 s[0:1], 0, v1
	v_cmp_lt_f32_e64 s[2:3], v2, v7
	v_min_i32_e32 v8, v6, v1
	v_cmp_eq_f32_e64 s[4:5], v2, v7
	s_or_b64 s[0:1], s[0:1], s[2:3]
	v_cndmask_b32_e64 v1, v1, v8, s[4:5]
	v_cndmask_b32_e64 v2, v2, v7, s[0:1]
	v_cndmask_b32_e64 v1, v1, v6, s[0:1]
	v_mov_b32_e32 v10, v2
; %bb.14:
	s_or_b64 exec, exec, s[8:9]
	v_and_b32_e32 v9, 63, v5
	v_cmp_gt_u32_e64 s[0:1], 48, v9
	v_cndmask_b32_e64 v6, 0, 16, s[0:1]
	v_add_lshl_u32 v7, v6, v5, 2
	ds_bpermute_b32 v6, v7, v1
	ds_bpermute_b32 v7, v7, v2
	s_waitcnt lgkmcnt(1)
	v_cmp_ne_u32_e64 s[0:1], 0, v6
	s_and_saveexec_b64 s[4:5], s[0:1]
	s_cbranch_execz .LBB1_18
; %bb.15:
	v_cmp_ne_u32_e64 s[0:1], 0, v1
	s_waitcnt lgkmcnt(0)
	v_cmp_nlt_f32_e64 s[2:3], v10, v7
	s_and_b64 s[0:1], s[0:1], s[2:3]
	v_mov_b32_e32 v8, v7
	s_and_saveexec_b64 s[2:3], s[0:1]
; %bb.16:
	v_min_i32_e32 v6, v6, v1
	v_cmp_eq_f32_e64 s[0:1], v10, v7
	v_cndmask_b32_e64 v6, v1, v6, s[0:1]
	v_mov_b32_e32 v8, v10
	v_mov_b32_e32 v7, v2
; %bb.17:
	s_or_b64 exec, exec, s[2:3]
	v_mov_b32_e32 v2, v7
	v_mov_b32_e32 v1, v6
	v_mov_b32_e32 v10, v8
.LBB1_18:
	s_or_b64 exec, exec, s[4:5]
	v_cmp_gt_u32_e64 s[0:1], 56, v9
	v_cndmask_b32_e64 v6, 0, 8, s[0:1]
	v_add_lshl_u32 v6, v6, v5, 2
	s_waitcnt lgkmcnt(0)
	ds_bpermute_b32 v7, v6, v1
	ds_bpermute_b32 v8, v6, v2
	s_waitcnt lgkmcnt(1)
	v_cmp_ne_u32_e64 s[0:1], 0, v7
	s_and_saveexec_b64 s[4:5], s[0:1]
	s_cbranch_execz .LBB1_22
; %bb.19:
	v_cmp_ne_u32_e64 s[0:1], 0, v1
	s_waitcnt lgkmcnt(0)
	v_cmp_nlt_f32_e64 s[2:3], v10, v8
	s_and_b64 s[0:1], s[0:1], s[2:3]
	v_mov_b32_e32 v11, v8
	s_and_saveexec_b64 s[2:3], s[0:1]
; %bb.20:
	v_min_i32_e32 v7, v7, v1
	v_cmp_eq_f32_e64 s[0:1], v10, v8
	v_cndmask_b32_e64 v7, v1, v7, s[0:1]
	v_mov_b32_e32 v11, v10
	v_mov_b32_e32 v8, v2
; %bb.21:
	s_or_b64 exec, exec, s[2:3]
	v_mov_b32_e32 v2, v8
	v_mov_b32_e32 v1, v7
	v_mov_b32_e32 v10, v11
.LBB1_22:
	s_or_b64 exec, exec, s[4:5]
	v_cmp_gt_u32_e64 s[0:1], 60, v9
	v_cndmask_b32_e64 v7, 0, 4, s[0:1]
	v_add_lshl_u32 v7, v7, v5, 2
	s_waitcnt lgkmcnt(0)
	;; [unrolled: 30-line block ×3, first 2 shown]
	ds_bpermute_b32 v11, v8, v1
	ds_bpermute_b32 v12, v8, v2
	s_waitcnt lgkmcnt(1)
	v_cmp_ne_u32_e64 s[0:1], 0, v11
	s_and_saveexec_b64 s[4:5], s[0:1]
	s_cbranch_execz .LBB1_30
; %bb.27:
	v_cmp_ne_u32_e64 s[0:1], 0, v1
	s_waitcnt lgkmcnt(0)
	v_cmp_nlt_f32_e64 s[2:3], v10, v12
	s_and_b64 s[0:1], s[0:1], s[2:3]
	v_mov_b32_e32 v13, v12
	s_and_saveexec_b64 s[2:3], s[0:1]
; %bb.28:
	v_min_i32_e32 v11, v11, v1
	v_cmp_eq_f32_e64 s[0:1], v10, v12
	v_cndmask_b32_e64 v11, v1, v11, s[0:1]
	v_mov_b32_e32 v13, v10
	v_mov_b32_e32 v12, v2
; %bb.29:
	s_or_b64 exec, exec, s[2:3]
	v_mov_b32_e32 v2, v12
	v_mov_b32_e32 v1, v11
	;; [unrolled: 1-line block ×3, first 2 shown]
.LBB1_30:
	s_or_b64 exec, exec, s[4:5]
	v_cmp_ne_u32_e64 s[0:1], 63, v9
	v_addc_co_u32_e64 v5, s[0:1], 0, v5, s[0:1]
	v_lshlrev_b32_e32 v5, 2, v5
	ds_bpermute_b32 v9, v5, v1
	ds_bpermute_b32 v11, v5, v2
	s_waitcnt lgkmcnt(1)
	v_cmp_ne_u32_e64 s[0:1], 0, v9
	s_and_saveexec_b64 s[8:9], s[0:1]
	s_cbranch_execz .LBB1_32
; %bb.31:
	v_cmp_eq_u32_e64 s[0:1], 0, v1
	s_waitcnt lgkmcnt(0)
	v_cmp_lt_f32_e64 s[2:3], v10, v11
	v_min_i32_e32 v12, v9, v1
	v_cmp_eq_f32_e64 s[4:5], v10, v11
	v_cndmask_b32_e64 v1, v1, v12, s[4:5]
	s_or_b64 s[0:1], s[0:1], s[2:3]
	v_cndmask_b32_e64 v2, v2, v11, s[0:1]
	v_cndmask_b32_e64 v1, v1, v9, s[0:1]
.LBB1_32:
	s_or_b64 exec, exec, s[8:9]
	v_cmp_eq_u32_e64 s[0:1], 0, v4
	s_and_saveexec_b64 s[2:3], s[0:1]
; %bb.33:
	v_lshrrev_b32_e32 v4, 3, v0
	v_and_b32_e32 v4, 0x78, v4
	ds_write_b64 v4, v[1:2]
; %bb.34:
	s_or_b64 exec, exec, s[2:3]
	v_cmp_gt_u32_e64 s[0:1], 16, v0
	v_mov_b32_e32 v1, 0
	v_mov_b32_e32 v2, 0
	s_waitcnt lgkmcnt(0)
	s_barrier
	s_and_saveexec_b64 s[2:3], s[0:1]
; %bb.35:
	ds_read_b64 v[1:2], v3
; %bb.36:
	s_or_b64 exec, exec, s[2:3]
	s_and_saveexec_b64 s[4:5], vcc
	s_cbranch_execz .LBB1_50
; %bb.37:
	s_waitcnt lgkmcnt(0)
	ds_bpermute_b32 v3, v6, v1
	ds_bpermute_b32 v4, v6, v2
	s_waitcnt lgkmcnt(1)
	v_cmp_ne_u32_e32 vcc, 0, v3
	s_and_saveexec_b64 s[8:9], vcc
	s_cbranch_execz .LBB1_39
; %bb.38:
	v_cmp_eq_u32_e32 vcc, 0, v1
	s_waitcnt lgkmcnt(0)
	v_cmp_lt_f32_e64 s[0:1], v2, v4
	v_min_i32_e32 v6, v3, v1
	v_cmp_eq_f32_e64 s[2:3], v2, v4
	v_cndmask_b32_e64 v1, v1, v6, s[2:3]
	s_or_b64 vcc, vcc, s[0:1]
	v_cndmask_b32_e32 v1, v1, v3, vcc
	v_cndmask_b32_e32 v2, v2, v4, vcc
.LBB1_39:
	s_or_b64 exec, exec, s[8:9]
	s_waitcnt lgkmcnt(0)
	ds_bpermute_b32 v4, v7, v1
	ds_bpermute_b32 v6, v7, v2
	v_mov_b32_e32 v3, v2
	s_waitcnt lgkmcnt(1)
	v_cmp_ne_u32_e32 vcc, 0, v4
	s_and_saveexec_b64 s[2:3], vcc
	s_cbranch_execz .LBB1_43
; %bb.40:
	v_cmp_ne_u32_e32 vcc, 0, v1
	s_waitcnt lgkmcnt(0)
	v_cmp_nlt_f32_e64 s[0:1], v2, v6
	s_and_b64 s[8:9], vcc, s[0:1]
	s_and_saveexec_b64 s[0:1], s[8:9]
; %bb.41:
	v_min_i32_e32 v3, v4, v1
	v_cmp_eq_f32_e32 vcc, v2, v6
	v_cndmask_b32_e32 v4, v1, v3, vcc
	v_mov_b32_e32 v6, v2
; %bb.42:
	s_or_b64 exec, exec, s[0:1]
	v_mov_b32_e32 v2, v6
	v_mov_b32_e32 v1, v4
	;; [unrolled: 1-line block ×3, first 2 shown]
.LBB1_43:
	s_or_b64 exec, exec, s[2:3]
	ds_bpermute_b32 v4, v8, v1
	s_waitcnt lgkmcnt(1)
	ds_bpermute_b32 v6, v8, v2
	s_waitcnt lgkmcnt(1)
	v_cmp_ne_u32_e32 vcc, 0, v4
	s_and_saveexec_b64 s[2:3], vcc
	s_cbranch_execz .LBB1_47
; %bb.44:
	v_cmp_ne_u32_e32 vcc, 0, v1
	s_waitcnt lgkmcnt(0)
	v_cmp_nlt_f32_e64 s[0:1], v3, v6
	s_and_b64 s[8:9], vcc, s[0:1]
	v_mov_b32_e32 v7, v6
	s_and_saveexec_b64 s[0:1], s[8:9]
; %bb.45:
	v_min_i32_e32 v4, v4, v1
	v_cmp_eq_f32_e32 vcc, v3, v6
	v_cndmask_b32_e32 v4, v1, v4, vcc
	v_mov_b32_e32 v7, v3
	v_mov_b32_e32 v6, v2
; %bb.46:
	s_or_b64 exec, exec, s[0:1]
	v_mov_b32_e32 v2, v6
	v_mov_b32_e32 v1, v4
	;; [unrolled: 1-line block ×3, first 2 shown]
.LBB1_47:
	s_or_b64 exec, exec, s[2:3]
	ds_bpermute_b32 v4, v5, v1
	ds_bpermute_b32 v2, v5, v2
	s_waitcnt lgkmcnt(1)
	v_cmp_ne_u32_e32 vcc, 0, v4
	s_and_saveexec_b64 s[8:9], vcc
	s_cbranch_execz .LBB1_49
; %bb.48:
	v_cmp_eq_u32_e32 vcc, 0, v1
	s_waitcnt lgkmcnt(0)
	v_cmp_lt_f32_e64 s[0:1], v3, v2
	v_min_i32_e32 v5, v4, v1
	v_cmp_eq_f32_e64 s[2:3], v3, v2
	v_cndmask_b32_e64 v1, v1, v5, s[2:3]
	s_or_b64 vcc, vcc, s[0:1]
	v_cndmask_b32_e32 v1, v1, v4, vcc
.LBB1_49:
	s_or_b64 exec, exec, s[8:9]
.LBB1_50:
	s_or_b64 exec, exec, s[4:5]
	s_mov_b32 s7, 0
	v_cmp_eq_u32_e32 vcc, 0, v0
	s_and_saveexec_b64 s[0:1], vcc
	s_cbranch_execz .LBB1_52
; %bb.51:
	s_lshl_b64 s[0:1], s[6:7], 2
	s_add_u32 s0, s10, s0
	s_addc_u32 s1, s11, s1
	v_mov_b32_e32 v0, 0
	s_waitcnt lgkmcnt(0)
	global_store_dword v0, v1, s[0:1]
.LBB1_52:
	s_endpgm
	.section	.rodata,"a",@progbits
	.p2align	6, 0x0
	.amdhsa_kernel _ZL32rocblas_iamax_iamin_kernel_part2ILi1024E19rocblas_reduce_amax21rocblas_index_value_tIfEiEviPT1_PT2_
		.amdhsa_group_segment_fixed_size 512
		.amdhsa_private_segment_fixed_size 0
		.amdhsa_kernarg_size 24
		.amdhsa_user_sgpr_count 6
		.amdhsa_user_sgpr_private_segment_buffer 1
		.amdhsa_user_sgpr_dispatch_ptr 0
		.amdhsa_user_sgpr_queue_ptr 0
		.amdhsa_user_sgpr_kernarg_segment_ptr 1
		.amdhsa_user_sgpr_dispatch_id 0
		.amdhsa_user_sgpr_flat_scratch_init 0
		.amdhsa_user_sgpr_private_segment_size 0
		.amdhsa_uses_dynamic_stack 0
		.amdhsa_system_sgpr_private_segment_wavefront_offset 0
		.amdhsa_system_sgpr_workgroup_id_x 1
		.amdhsa_system_sgpr_workgroup_id_y 0
		.amdhsa_system_sgpr_workgroup_id_z 0
		.amdhsa_system_sgpr_workgroup_info 0
		.amdhsa_system_vgpr_workitem_id 0
		.amdhsa_next_free_vgpr 14
		.amdhsa_next_free_sgpr 16
		.amdhsa_reserve_vcc 1
		.amdhsa_reserve_flat_scratch 0
		.amdhsa_float_round_mode_32 0
		.amdhsa_float_round_mode_16_64 0
		.amdhsa_float_denorm_mode_32 3
		.amdhsa_float_denorm_mode_16_64 3
		.amdhsa_dx10_clamp 1
		.amdhsa_ieee_mode 1
		.amdhsa_fp16_overflow 0
		.amdhsa_exception_fp_ieee_invalid_op 0
		.amdhsa_exception_fp_denorm_src 0
		.amdhsa_exception_fp_ieee_div_zero 0
		.amdhsa_exception_fp_ieee_overflow 0
		.amdhsa_exception_fp_ieee_underflow 0
		.amdhsa_exception_fp_ieee_inexact 0
		.amdhsa_exception_int_div_zero 0
	.end_amdhsa_kernel
	.section	.text._ZL32rocblas_iamax_iamin_kernel_part2ILi1024E19rocblas_reduce_amax21rocblas_index_value_tIfEiEviPT1_PT2_,"axG",@progbits,_ZL32rocblas_iamax_iamin_kernel_part2ILi1024E19rocblas_reduce_amax21rocblas_index_value_tIfEiEviPT1_PT2_,comdat
.Lfunc_end1:
	.size	_ZL32rocblas_iamax_iamin_kernel_part2ILi1024E19rocblas_reduce_amax21rocblas_index_value_tIfEiEviPT1_PT2_, .Lfunc_end1-_ZL32rocblas_iamax_iamin_kernel_part2ILi1024E19rocblas_reduce_amax21rocblas_index_value_tIfEiEviPT1_PT2_
                                        ; -- End function
	.set _ZL32rocblas_iamax_iamin_kernel_part2ILi1024E19rocblas_reduce_amax21rocblas_index_value_tIfEiEviPT1_PT2_.num_vgpr, 14
	.set _ZL32rocblas_iamax_iamin_kernel_part2ILi1024E19rocblas_reduce_amax21rocblas_index_value_tIfEiEviPT1_PT2_.num_agpr, 0
	.set _ZL32rocblas_iamax_iamin_kernel_part2ILi1024E19rocblas_reduce_amax21rocblas_index_value_tIfEiEviPT1_PT2_.numbered_sgpr, 16
	.set _ZL32rocblas_iamax_iamin_kernel_part2ILi1024E19rocblas_reduce_amax21rocblas_index_value_tIfEiEviPT1_PT2_.num_named_barrier, 0
	.set _ZL32rocblas_iamax_iamin_kernel_part2ILi1024E19rocblas_reduce_amax21rocblas_index_value_tIfEiEviPT1_PT2_.private_seg_size, 0
	.set _ZL32rocblas_iamax_iamin_kernel_part2ILi1024E19rocblas_reduce_amax21rocblas_index_value_tIfEiEviPT1_PT2_.uses_vcc, 1
	.set _ZL32rocblas_iamax_iamin_kernel_part2ILi1024E19rocblas_reduce_amax21rocblas_index_value_tIfEiEviPT1_PT2_.uses_flat_scratch, 0
	.set _ZL32rocblas_iamax_iamin_kernel_part2ILi1024E19rocblas_reduce_amax21rocblas_index_value_tIfEiEviPT1_PT2_.has_dyn_sized_stack, 0
	.set _ZL32rocblas_iamax_iamin_kernel_part2ILi1024E19rocblas_reduce_amax21rocblas_index_value_tIfEiEviPT1_PT2_.has_recursion, 0
	.set _ZL32rocblas_iamax_iamin_kernel_part2ILi1024E19rocblas_reduce_amax21rocblas_index_value_tIfEiEviPT1_PT2_.has_indirect_call, 0
	.section	.AMDGPU.csdata,"",@progbits
; Kernel info:
; codeLenInByte = 1656
; TotalNumSgprs: 20
; NumVgprs: 14
; ScratchSize: 0
; MemoryBound: 0
; FloatMode: 240
; IeeeMode: 1
; LDSByteSize: 512 bytes/workgroup (compile time only)
; SGPRBlocks: 2
; VGPRBlocks: 3
; NumSGPRsForWavesPerEU: 20
; NumVGPRsForWavesPerEU: 14
; Occupancy: 10
; WaveLimiterHint : 0
; COMPUTE_PGM_RSRC2:SCRATCH_EN: 0
; COMPUTE_PGM_RSRC2:USER_SGPR: 6
; COMPUTE_PGM_RSRC2:TRAP_HANDLER: 0
; COMPUTE_PGM_RSRC2:TGID_X_EN: 1
; COMPUTE_PGM_RSRC2:TGID_Y_EN: 0
; COMPUTE_PGM_RSRC2:TGID_Z_EN: 0
; COMPUTE_PGM_RSRC2:TIDIG_COMP_CNT: 0
	.section	.text._ZL32rocblas_iamax_iamin_kernel_part1ILi1024E23rocblas_fetch_amax_aminIdE19rocblas_reduce_amaxPKd21rocblas_index_value_tIdEEviiT2_liliPT3_,"axG",@progbits,_ZL32rocblas_iamax_iamin_kernel_part1ILi1024E23rocblas_fetch_amax_aminIdE19rocblas_reduce_amaxPKd21rocblas_index_value_tIdEEviiT2_liliPT3_,comdat
	.globl	_ZL32rocblas_iamax_iamin_kernel_part1ILi1024E23rocblas_fetch_amax_aminIdE19rocblas_reduce_amaxPKd21rocblas_index_value_tIdEEviiT2_liliPT3_ ; -- Begin function _ZL32rocblas_iamax_iamin_kernel_part1ILi1024E23rocblas_fetch_amax_aminIdE19rocblas_reduce_amaxPKd21rocblas_index_value_tIdEEviiT2_liliPT3_
	.p2align	8
	.type	_ZL32rocblas_iamax_iamin_kernel_part1ILi1024E23rocblas_fetch_amax_aminIdE19rocblas_reduce_amaxPKd21rocblas_index_value_tIdEEviiT2_liliPT3_,@function
_ZL32rocblas_iamax_iamin_kernel_part1ILi1024E23rocblas_fetch_amax_aminIdE19rocblas_reduce_amaxPKd21rocblas_index_value_tIdEEviiT2_liliPT3_: ; @_ZL32rocblas_iamax_iamin_kernel_part1ILi1024E23rocblas_fetch_amax_aminIdE19rocblas_reduce_amaxPKd21rocblas_index_value_tIdEEviiT2_liliPT3_
; %bb.0:
	s_load_dwordx2 s[10:11], s[4:5], 0x0
	v_lshl_or_b32 v1, s6, 10, v0
	v_mov_b32_e32 v2, 0
                                        ; implicit-def: $vgpr3_vgpr4
	s_waitcnt lgkmcnt(0)
	s_ashr_i32 s1, s10, 31
	s_mov_b32 s0, s10
	v_cmp_gt_i64_e32 vcc, s[0:1], v[1:2]
	s_and_saveexec_b64 s[0:1], vcc
	s_cbranch_execz .LBB2_2
; %bb.1:
	s_load_dword s8, s[4:5], 0x18
	s_load_dwordx2 s[2:3], s[4:5], 0x20
	s_load_dwordx4 s[12:15], s[4:5], 0x8
	s_waitcnt lgkmcnt(0)
	s_ashr_i32 s10, s8, 31
	s_mul_i32 s3, s3, s7
	s_mul_hi_u32 s9, s2, s7
	s_add_i32 s3, s9, s3
	v_mad_u64_u32 v[2:3], s[8:9], s8, v1, 0
	s_mul_i32 s2, s2, s7
	s_lshl_b64 s[2:3], s[2:3], 3
	s_add_u32 s8, s12, s2
	s_addc_u32 s9, s13, s3
	v_mad_u64_u32 v[3:4], s[2:3], s10, v1, v[3:4]
	s_lshl_b64 s[2:3], s[14:15], 3
	s_add_u32 s2, s8, s2
	v_lshlrev_b64 v[2:3], 3, v[2:3]
	s_addc_u32 s3, s9, s3
	v_mov_b32_e32 v4, s3
	v_add_co_u32_e32 v2, vcc, s2, v2
	v_addc_co_u32_e32 v3, vcc, v4, v3, vcc
	global_load_dwordx2 v[3:4], v[2:3], off
	v_add_u32_e32 v2, 1, v1
	s_waitcnt vmcnt(0)
	v_cmp_gt_f64_e32 vcc, 0, v[3:4]
	v_xor_b32_e32 v1, 0x80000000, v4
	v_cndmask_b32_e32 v4, v4, v1, vcc
.LBB2_2:
	s_or_b64 exec, exec, s[0:1]
	v_and_b32_e32 v1, 63, v0
	v_cmp_gt_u32_e32 vcc, 64, v0
	v_lshlrev_b32_e32 v11, 4, v1
	s_and_saveexec_b64 s[0:1], vcc
	s_cbranch_execz .LBB2_4
; %bb.3:
	v_mov_b32_e32 v5, 0
	v_mov_b32_e32 v6, v5
	ds_write_b32 v11, v5
	ds_write_b64 v11, v[5:6] offset:8
.LBB2_4:
	s_or_b64 exec, exec, s[0:1]
	v_mbcnt_lo_u32_b32 v5, -1, 0
	v_mbcnt_hi_u32_b32 v12, -1, v5
	v_mov_b32_e32 v5, 0x80
	v_lshl_or_b32 v5, v12, 2, v5
	ds_bpermute_b32 v9, v5, v2
	ds_bpermute_b32 v7, v5, v3
	;; [unrolled: 1-line block ×3, first 2 shown]
	v_mov_b32_e32 v6, v4
	v_mov_b32_e32 v5, v3
	s_waitcnt lgkmcnt(2)
	v_cmp_ne_u32_e64 s[0:1], 0, v9
	s_waitcnt lgkmcnt(0)
	s_barrier
	s_and_saveexec_b64 s[8:9], s[0:1]
	s_cbranch_execz .LBB2_8
; %bb.5:
	v_cmp_nlt_f64_e64 s[0:1], v[3:4], v[7:8]
	v_cmp_ne_u32_e64 s[2:3], 0, v2
	v_mov_b32_e32 v5, v7
	v_mov_b32_e32 v6, v8
	s_and_b64 s[0:1], s[2:3], s[0:1]
	s_and_saveexec_b64 s[2:3], s[0:1]
	s_cbranch_execz .LBB2_7
; %bb.6:
	v_cmp_eq_f64_e64 s[0:1], v[3:4], v[7:8]
	v_min_i32_e32 v5, v9, v2
	v_mov_b32_e32 v7, v3
	v_mov_b32_e32 v8, v4
	v_cndmask_b32_e64 v9, v2, v5, s[0:1]
	v_mov_b32_e32 v6, v4
	v_mov_b32_e32 v5, v3
.LBB2_7:
	s_or_b64 exec, exec, s[2:3]
	v_mov_b32_e32 v4, v8
	v_mov_b32_e32 v3, v7
	;; [unrolled: 1-line block ×3, first 2 shown]
.LBB2_8:
	s_or_b64 exec, exec, s[8:9]
	v_and_b32_e32 v16, 63, v12
	v_cmp_gt_u32_e64 s[0:1], 48, v16
	v_cndmask_b32_e64 v7, 0, 16, s[0:1]
	v_add_lshl_u32 v8, v7, v12, 2
	ds_bpermute_b32 v13, v8, v2
	ds_bpermute_b32 v7, v8, v3
	;; [unrolled: 1-line block ×3, first 2 shown]
	s_waitcnt lgkmcnt(2)
	v_cmp_ne_u32_e64 s[0:1], 0, v13
	s_and_saveexec_b64 s[8:9], s[0:1]
	s_cbranch_execz .LBB2_12
; %bb.9:
	s_waitcnt lgkmcnt(0)
	v_cmp_nlt_f64_e64 s[0:1], v[5:6], v[7:8]
	v_cmp_ne_u32_e64 s[2:3], 0, v2
	v_mov_b32_e32 v10, v8
	v_mov_b32_e32 v9, v7
	s_and_b64 s[0:1], s[2:3], s[0:1]
	s_and_saveexec_b64 s[2:3], s[0:1]
	s_cbranch_execz .LBB2_11
; %bb.10:
	v_cmp_eq_f64_e64 s[0:1], v[5:6], v[7:8]
	v_min_i32_e32 v9, v13, v2
	v_mov_b32_e32 v7, v3
	v_mov_b32_e32 v8, v4
	v_cndmask_b32_e64 v13, v2, v9, s[0:1]
	v_mov_b32_e32 v10, v6
	v_mov_b32_e32 v9, v5
.LBB2_11:
	s_or_b64 exec, exec, s[2:3]
	v_mov_b32_e32 v5, v9
	v_mov_b32_e32 v4, v8
	v_mov_b32_e32 v3, v7
	v_mov_b32_e32 v2, v13
	v_mov_b32_e32 v6, v10
.LBB2_12:
	s_or_b64 exec, exec, s[8:9]
	v_cmp_gt_u32_e64 s[0:1], 56, v16
	s_waitcnt lgkmcnt(1)
	v_cndmask_b32_e64 v7, 0, 8, s[0:1]
	v_add_lshl_u32 v13, v7, v12, 2
	ds_bpermute_b32 v14, v13, v2
	ds_bpermute_b32 v7, v13, v3
	s_waitcnt lgkmcnt(2)
	ds_bpermute_b32 v8, v13, v4
	s_waitcnt lgkmcnt(2)
	v_cmp_ne_u32_e64 s[0:1], 0, v14
	s_and_saveexec_b64 s[8:9], s[0:1]
	s_cbranch_execz .LBB2_16
; %bb.13:
	s_waitcnt lgkmcnt(0)
	v_cmp_nlt_f64_e64 s[0:1], v[5:6], v[7:8]
	v_cmp_ne_u32_e64 s[2:3], 0, v2
	v_mov_b32_e32 v10, v8
	v_mov_b32_e32 v9, v7
	s_and_b64 s[0:1], s[2:3], s[0:1]
	s_and_saveexec_b64 s[2:3], s[0:1]
	s_cbranch_execz .LBB2_15
; %bb.14:
	v_cmp_eq_f64_e64 s[0:1], v[5:6], v[7:8]
	v_min_i32_e32 v9, v14, v2
	v_mov_b32_e32 v7, v3
	v_mov_b32_e32 v8, v4
	v_cndmask_b32_e64 v14, v2, v9, s[0:1]
	v_mov_b32_e32 v10, v6
	v_mov_b32_e32 v9, v5
.LBB2_15:
	s_or_b64 exec, exec, s[2:3]
	v_mov_b32_e32 v5, v9
	v_mov_b32_e32 v4, v8
	v_mov_b32_e32 v3, v7
	v_mov_b32_e32 v2, v14
	v_mov_b32_e32 v6, v10
.LBB2_16:
	s_or_b64 exec, exec, s[8:9]
	v_cmp_gt_u32_e64 s[0:1], 60, v16
	s_waitcnt lgkmcnt(1)
	v_cndmask_b32_e64 v7, 0, 4, s[0:1]
	v_add_lshl_u32 v14, v7, v12, 2
	ds_bpermute_b32 v15, v14, v2
	ds_bpermute_b32 v7, v14, v3
	s_waitcnt lgkmcnt(2)
	ds_bpermute_b32 v8, v14, v4
	;; [unrolled: 38-line block ×3, first 2 shown]
	s_waitcnt lgkmcnt(2)
	v_cmp_ne_u32_e64 s[0:1], 0, v17
	s_and_saveexec_b64 s[8:9], s[0:1]
	s_cbranch_execz .LBB2_24
; %bb.21:
	s_waitcnt lgkmcnt(0)
	v_cmp_nlt_f64_e64 s[0:1], v[5:6], v[7:8]
	v_cmp_ne_u32_e64 s[2:3], 0, v2
	v_mov_b32_e32 v10, v8
	v_mov_b32_e32 v9, v7
	s_and_b64 s[0:1], s[2:3], s[0:1]
	s_and_saveexec_b64 s[2:3], s[0:1]
	s_cbranch_execz .LBB2_23
; %bb.22:
	v_cmp_eq_f64_e64 s[0:1], v[5:6], v[7:8]
	v_min_i32_e32 v9, v17, v2
	v_mov_b32_e32 v7, v3
	v_mov_b32_e32 v8, v4
	v_cndmask_b32_e64 v17, v2, v9, s[0:1]
	v_mov_b32_e32 v10, v6
	v_mov_b32_e32 v9, v5
.LBB2_23:
	s_or_b64 exec, exec, s[2:3]
	v_mov_b32_e32 v5, v9
	v_mov_b32_e32 v4, v8
	;; [unrolled: 1-line block ×5, first 2 shown]
.LBB2_24:
	s_or_b64 exec, exec, s[8:9]
	v_cmp_ne_u32_e64 s[0:1], 63, v16
	s_waitcnt lgkmcnt(1)
	v_addc_co_u32_e64 v7, s[0:1], 0, v12, s[0:1]
	v_lshlrev_b32_e32 v9, 2, v7
	ds_bpermute_b32 v7, v9, v2
	ds_bpermute_b32 v3, v9, v3
	;; [unrolled: 1-line block ×3, first 2 shown]
	s_waitcnt lgkmcnt(2)
	v_cmp_ne_u32_e64 s[0:1], 0, v7
	s_and_saveexec_b64 s[12:13], s[0:1]
	s_cbranch_execz .LBB2_26
; %bb.25:
	s_waitcnt lgkmcnt(0)
	v_cmp_lt_f64_e64 s[0:1], v[5:6], v[3:4]
	v_cmp_eq_f64_e64 s[8:9], v[5:6], v[3:4]
	v_cmp_eq_u32_e64 s[2:3], 0, v2
	v_min_i32_e32 v8, v7, v2
	s_or_b64 s[0:1], s[2:3], s[0:1]
	v_cndmask_b32_e64 v2, v2, v8, s[8:9]
	v_cndmask_b32_e64 v2, v2, v7, s[0:1]
	;; [unrolled: 1-line block ×4, first 2 shown]
.LBB2_26:
	s_or_b64 exec, exec, s[12:13]
	v_cmp_eq_u32_e64 s[0:1], 0, v1
	s_and_saveexec_b64 s[2:3], s[0:1]
	s_cbranch_execz .LBB2_28
; %bb.27:
	v_lshrrev_b32_e32 v1, 2, v0
	v_and_b32_e32 v1, 0xf0, v1
	ds_write_b32 v1, v2
	ds_write_b64 v1, v[5:6] offset:8
.LBB2_28:
	s_or_b64 exec, exec, s[2:3]
	v_mov_b32_e32 v1, 0
	v_cmp_gt_u32_e64 s[0:1], 16, v0
	v_mov_b32_e32 v2, 0
	v_mov_b32_e32 v10, 0
	s_waitcnt lgkmcnt(0)
	s_barrier
	s_and_saveexec_b64 s[2:3], s[0:1]
	s_cbranch_execz .LBB2_30
; %bb.29:
	ds_read_b32 v10, v11
	ds_read_b64 v[1:2], v11 offset:8
.LBB2_30:
	s_or_b64 exec, exec, s[2:3]
	s_and_saveexec_b64 s[8:9], vcc
	s_cbranch_execz .LBB2_46
; %bb.31:
	s_waitcnt lgkmcnt(1)
	ds_bpermute_b32 v7, v13, v10
	s_waitcnt lgkmcnt(1)
	ds_bpermute_b32 v5, v13, v1
	ds_bpermute_b32 v6, v13, v2
	v_mov_b32_e32 v4, v2
	v_mov_b32_e32 v3, v1
	s_waitcnt lgkmcnt(2)
	v_cmp_ne_u32_e32 vcc, 0, v7
	s_and_saveexec_b64 s[2:3], vcc
	s_cbranch_execz .LBB2_35
; %bb.32:
	s_waitcnt lgkmcnt(0)
	v_cmp_nlt_f64_e32 vcc, v[1:2], v[5:6]
	v_cmp_ne_u32_e64 s[0:1], 0, v10
	v_mov_b32_e32 v3, v5
	v_mov_b32_e32 v4, v6
	s_and_b64 s[12:13], s[0:1], vcc
	s_and_saveexec_b64 s[0:1], s[12:13]
	s_cbranch_execz .LBB2_34
; %bb.33:
	v_cmp_eq_f64_e32 vcc, v[1:2], v[5:6]
	v_min_i32_e32 v3, v7, v10
	v_mov_b32_e32 v5, v1
	v_mov_b32_e32 v6, v2
	v_cndmask_b32_e32 v7, v10, v3, vcc
	v_mov_b32_e32 v4, v2
	v_mov_b32_e32 v3, v1
.LBB2_34:
	s_or_b64 exec, exec, s[0:1]
	v_mov_b32_e32 v2, v6
	v_mov_b32_e32 v1, v5
	;; [unrolled: 1-line block ×3, first 2 shown]
.LBB2_35:
	s_or_b64 exec, exec, s[2:3]
	ds_bpermute_b32 v11, v14, v10
	s_waitcnt lgkmcnt(2)
	ds_bpermute_b32 v5, v14, v1
	s_waitcnt lgkmcnt(2)
	;; [unrolled: 2-line block ×3, first 2 shown]
	v_cmp_ne_u32_e32 vcc, 0, v11
	s_and_saveexec_b64 s[2:3], vcc
	s_cbranch_execz .LBB2_39
; %bb.36:
	s_waitcnt lgkmcnt(0)
	v_cmp_nlt_f64_e32 vcc, v[3:4], v[5:6]
	v_cmp_ne_u32_e64 s[0:1], 0, v10
	v_mov_b32_e32 v8, v6
	v_mov_b32_e32 v7, v5
	s_and_b64 s[12:13], s[0:1], vcc
	s_and_saveexec_b64 s[0:1], s[12:13]
	s_cbranch_execz .LBB2_38
; %bb.37:
	v_cmp_eq_f64_e32 vcc, v[3:4], v[5:6]
	v_min_i32_e32 v7, v11, v10
	v_mov_b32_e32 v5, v1
	v_mov_b32_e32 v6, v2
	v_cndmask_b32_e32 v11, v10, v7, vcc
	v_mov_b32_e32 v8, v4
	v_mov_b32_e32 v7, v3
.LBB2_38:
	s_or_b64 exec, exec, s[0:1]
	v_mov_b32_e32 v3, v7
	v_mov_b32_e32 v2, v6
	;; [unrolled: 1-line block ×5, first 2 shown]
.LBB2_39:
	s_or_b64 exec, exec, s[2:3]
	ds_bpermute_b32 v11, v15, v10
	s_waitcnt lgkmcnt(2)
	ds_bpermute_b32 v5, v15, v1
	s_waitcnt lgkmcnt(2)
	ds_bpermute_b32 v6, v15, v2
	s_waitcnt lgkmcnt(2)
	v_cmp_ne_u32_e32 vcc, 0, v11
	s_and_saveexec_b64 s[2:3], vcc
	s_cbranch_execz .LBB2_43
; %bb.40:
	s_waitcnt lgkmcnt(0)
	v_cmp_nlt_f64_e32 vcc, v[3:4], v[5:6]
	v_cmp_ne_u32_e64 s[0:1], 0, v10
	v_mov_b32_e32 v8, v6
	v_mov_b32_e32 v7, v5
	s_and_b64 s[12:13], s[0:1], vcc
	s_and_saveexec_b64 s[0:1], s[12:13]
	s_cbranch_execz .LBB2_42
; %bb.41:
	v_cmp_eq_f64_e32 vcc, v[3:4], v[5:6]
	v_min_i32_e32 v7, v11, v10
	v_mov_b32_e32 v5, v1
	v_mov_b32_e32 v6, v2
	v_cndmask_b32_e32 v11, v10, v7, vcc
	v_mov_b32_e32 v8, v4
	v_mov_b32_e32 v7, v3
.LBB2_42:
	s_or_b64 exec, exec, s[0:1]
	v_mov_b32_e32 v3, v7
	v_mov_b32_e32 v2, v6
	;; [unrolled: 1-line block ×5, first 2 shown]
.LBB2_43:
	s_or_b64 exec, exec, s[2:3]
	s_waitcnt lgkmcnt(1)
	ds_bpermute_b32 v5, v9, v10
	ds_bpermute_b32 v1, v9, v1
	;; [unrolled: 1-line block ×3, first 2 shown]
	s_waitcnt lgkmcnt(2)
	v_cmp_ne_u32_e32 vcc, 0, v5
	s_and_saveexec_b64 s[12:13], vcc
	s_cbranch_execz .LBB2_45
; %bb.44:
	s_waitcnt lgkmcnt(0)
	v_cmp_lt_f64_e32 vcc, v[3:4], v[1:2]
	v_cmp_eq_f64_e64 s[2:3], v[3:4], v[1:2]
	v_cmp_eq_u32_e64 s[0:1], 0, v10
	v_min_i32_e32 v6, v5, v10
	s_or_b64 vcc, s[0:1], vcc
	v_cndmask_b32_e64 v6, v10, v6, s[2:3]
	v_cndmask_b32_e32 v10, v6, v5, vcc
	v_cndmask_b32_e32 v4, v4, v2, vcc
	v_cndmask_b32_e32 v3, v3, v1, vcc
.LBB2_45:
	s_or_b64 exec, exec, s[12:13]
	s_waitcnt lgkmcnt(0)
	v_mov_b32_e32 v1, v3
	v_mov_b32_e32 v2, v4
.LBB2_46:
	s_or_b64 exec, exec, s[8:9]
	s_mov_b32 s1, 0
	v_cmp_eq_u32_e32 vcc, 0, v0
	s_and_saveexec_b64 s[2:3], vcc
	s_cbranch_execz .LBB2_48
; %bb.47:
	s_load_dwordx2 s[2:3], s[4:5], 0x30
	s_mul_i32 s0, s11, s7
	s_add_i32 s0, s0, s6
	s_lshl_b64 s[0:1], s[0:1], 4
	v_mov_b32_e32 v0, 0
	s_waitcnt lgkmcnt(0)
	s_add_u32 s0, s2, s0
	s_addc_u32 s1, s3, s1
	global_store_dword v0, v10, s[0:1]
	global_store_dwordx2 v0, v[1:2], s[0:1] offset:8
.LBB2_48:
	s_endpgm
	.section	.rodata,"a",@progbits
	.p2align	6, 0x0
	.amdhsa_kernel _ZL32rocblas_iamax_iamin_kernel_part1ILi1024E23rocblas_fetch_amax_aminIdE19rocblas_reduce_amaxPKd21rocblas_index_value_tIdEEviiT2_liliPT3_
		.amdhsa_group_segment_fixed_size 1024
		.amdhsa_private_segment_fixed_size 0
		.amdhsa_kernarg_size 56
		.amdhsa_user_sgpr_count 6
		.amdhsa_user_sgpr_private_segment_buffer 1
		.amdhsa_user_sgpr_dispatch_ptr 0
		.amdhsa_user_sgpr_queue_ptr 0
		.amdhsa_user_sgpr_kernarg_segment_ptr 1
		.amdhsa_user_sgpr_dispatch_id 0
		.amdhsa_user_sgpr_flat_scratch_init 0
		.amdhsa_user_sgpr_private_segment_size 0
		.amdhsa_uses_dynamic_stack 0
		.amdhsa_system_sgpr_private_segment_wavefront_offset 0
		.amdhsa_system_sgpr_workgroup_id_x 1
		.amdhsa_system_sgpr_workgroup_id_y 0
		.amdhsa_system_sgpr_workgroup_id_z 1
		.amdhsa_system_sgpr_workgroup_info 0
		.amdhsa_system_vgpr_workitem_id 0
		.amdhsa_next_free_vgpr 18
		.amdhsa_next_free_sgpr 16
		.amdhsa_reserve_vcc 1
		.amdhsa_reserve_flat_scratch 0
		.amdhsa_float_round_mode_32 0
		.amdhsa_float_round_mode_16_64 0
		.amdhsa_float_denorm_mode_32 3
		.amdhsa_float_denorm_mode_16_64 3
		.amdhsa_dx10_clamp 1
		.amdhsa_ieee_mode 1
		.amdhsa_fp16_overflow 0
		.amdhsa_exception_fp_ieee_invalid_op 0
		.amdhsa_exception_fp_denorm_src 0
		.amdhsa_exception_fp_ieee_div_zero 0
		.amdhsa_exception_fp_ieee_overflow 0
		.amdhsa_exception_fp_ieee_underflow 0
		.amdhsa_exception_fp_ieee_inexact 0
		.amdhsa_exception_int_div_zero 0
	.end_amdhsa_kernel
	.section	.text._ZL32rocblas_iamax_iamin_kernel_part1ILi1024E23rocblas_fetch_amax_aminIdE19rocblas_reduce_amaxPKd21rocblas_index_value_tIdEEviiT2_liliPT3_,"axG",@progbits,_ZL32rocblas_iamax_iamin_kernel_part1ILi1024E23rocblas_fetch_amax_aminIdE19rocblas_reduce_amaxPKd21rocblas_index_value_tIdEEviiT2_liliPT3_,comdat
.Lfunc_end2:
	.size	_ZL32rocblas_iamax_iamin_kernel_part1ILi1024E23rocblas_fetch_amax_aminIdE19rocblas_reduce_amaxPKd21rocblas_index_value_tIdEEviiT2_liliPT3_, .Lfunc_end2-_ZL32rocblas_iamax_iamin_kernel_part1ILi1024E23rocblas_fetch_amax_aminIdE19rocblas_reduce_amaxPKd21rocblas_index_value_tIdEEviiT2_liliPT3_
                                        ; -- End function
	.set _ZL32rocblas_iamax_iamin_kernel_part1ILi1024E23rocblas_fetch_amax_aminIdE19rocblas_reduce_amaxPKd21rocblas_index_value_tIdEEviiT2_liliPT3_.num_vgpr, 18
	.set _ZL32rocblas_iamax_iamin_kernel_part1ILi1024E23rocblas_fetch_amax_aminIdE19rocblas_reduce_amaxPKd21rocblas_index_value_tIdEEviiT2_liliPT3_.num_agpr, 0
	.set _ZL32rocblas_iamax_iamin_kernel_part1ILi1024E23rocblas_fetch_amax_aminIdE19rocblas_reduce_amaxPKd21rocblas_index_value_tIdEEviiT2_liliPT3_.numbered_sgpr, 16
	.set _ZL32rocblas_iamax_iamin_kernel_part1ILi1024E23rocblas_fetch_amax_aminIdE19rocblas_reduce_amaxPKd21rocblas_index_value_tIdEEviiT2_liliPT3_.num_named_barrier, 0
	.set _ZL32rocblas_iamax_iamin_kernel_part1ILi1024E23rocblas_fetch_amax_aminIdE19rocblas_reduce_amaxPKd21rocblas_index_value_tIdEEviiT2_liliPT3_.private_seg_size, 0
	.set _ZL32rocblas_iamax_iamin_kernel_part1ILi1024E23rocblas_fetch_amax_aminIdE19rocblas_reduce_amaxPKd21rocblas_index_value_tIdEEviiT2_liliPT3_.uses_vcc, 1
	.set _ZL32rocblas_iamax_iamin_kernel_part1ILi1024E23rocblas_fetch_amax_aminIdE19rocblas_reduce_amaxPKd21rocblas_index_value_tIdEEviiT2_liliPT3_.uses_flat_scratch, 0
	.set _ZL32rocblas_iamax_iamin_kernel_part1ILi1024E23rocblas_fetch_amax_aminIdE19rocblas_reduce_amaxPKd21rocblas_index_value_tIdEEviiT2_liliPT3_.has_dyn_sized_stack, 0
	.set _ZL32rocblas_iamax_iamin_kernel_part1ILi1024E23rocblas_fetch_amax_aminIdE19rocblas_reduce_amaxPKd21rocblas_index_value_tIdEEviiT2_liliPT3_.has_recursion, 0
	.set _ZL32rocblas_iamax_iamin_kernel_part1ILi1024E23rocblas_fetch_amax_aminIdE19rocblas_reduce_amaxPKd21rocblas_index_value_tIdEEviiT2_liliPT3_.has_indirect_call, 0
	.section	.AMDGPU.csdata,"",@progbits
; Kernel info:
; codeLenInByte = 1996
; TotalNumSgprs: 20
; NumVgprs: 18
; ScratchSize: 0
; MemoryBound: 0
; FloatMode: 240
; IeeeMode: 1
; LDSByteSize: 1024 bytes/workgroup (compile time only)
; SGPRBlocks: 2
; VGPRBlocks: 4
; NumSGPRsForWavesPerEU: 20
; NumVGPRsForWavesPerEU: 18
; Occupancy: 10
; WaveLimiterHint : 0
; COMPUTE_PGM_RSRC2:SCRATCH_EN: 0
; COMPUTE_PGM_RSRC2:USER_SGPR: 6
; COMPUTE_PGM_RSRC2:TRAP_HANDLER: 0
; COMPUTE_PGM_RSRC2:TGID_X_EN: 1
; COMPUTE_PGM_RSRC2:TGID_Y_EN: 0
; COMPUTE_PGM_RSRC2:TGID_Z_EN: 1
; COMPUTE_PGM_RSRC2:TIDIG_COMP_CNT: 0
	.section	.text._ZL32rocblas_iamax_iamin_kernel_part2ILi1024E19rocblas_reduce_amax21rocblas_index_value_tIdEiEviPT1_PT2_,"axG",@progbits,_ZL32rocblas_iamax_iamin_kernel_part2ILi1024E19rocblas_reduce_amax21rocblas_index_value_tIdEiEviPT1_PT2_,comdat
	.globl	_ZL32rocblas_iamax_iamin_kernel_part2ILi1024E19rocblas_reduce_amax21rocblas_index_value_tIdEiEviPT1_PT2_ ; -- Begin function _ZL32rocblas_iamax_iamin_kernel_part2ILi1024E19rocblas_reduce_amax21rocblas_index_value_tIdEiEviPT1_PT2_
	.p2align	8
	.type	_ZL32rocblas_iamax_iamin_kernel_part2ILi1024E19rocblas_reduce_amax21rocblas_index_value_tIdEiEviPT1_PT2_,@function
_ZL32rocblas_iamax_iamin_kernel_part2ILi1024E19rocblas_reduce_amax21rocblas_index_value_tIdEiEviPT1_PT2_: ; @_ZL32rocblas_iamax_iamin_kernel_part2ILi1024E19rocblas_reduce_amax21rocblas_index_value_tIdEiEviPT1_PT2_
; %bb.0:
	s_load_dword s7, s[4:5], 0x0
	s_load_dwordx4 s[8:11], s[4:5], 0x8
	v_mov_b32_e32 v9, 0
                                        ; implicit-def: $vgpr1_vgpr2
	s_waitcnt lgkmcnt(0)
	v_cmp_gt_i32_e32 vcc, s7, v0
	s_and_saveexec_b64 s[2:3], vcc
	s_cbranch_execz .LBB3_10
; %bb.1:
	s_mul_i32 s0, s7, s6
	s_mov_b32 s1, 0
	s_lshl_b64 s[0:1], s[0:1], 4
	s_add_u32 s4, s8, s0
	s_addc_u32 s5, s9, s1
	v_lshlrev_b32_e32 v3, 4, v0
	global_load_dword v9, v3, s[4:5]
	global_load_dwordx2 v[1:2], v3, s[4:5] offset:8
	v_or_b32_e32 v7, 0x400, v0
	v_cmp_gt_u32_e32 vcc, s7, v7
	s_and_saveexec_b64 s[4:5], vcc
	s_cbranch_execz .LBB3_9
; %bb.2:
	s_add_u32 s0, s8, s0
	s_addc_u32 s1, s9, s1
	v_mov_b32_e32 v4, s1
	v_add_co_u32_e32 v3, vcc, s0, v3
	v_addc_co_u32_e32 v4, vcc, 0, v4, vcc
	v_add_co_u32_e32 v3, vcc, 0x4008, v3
	v_addc_co_u32_e32 v4, vcc, 0, v4, vcc
	s_mov_b64 s[8:9], 0
	s_branch .LBB3_5
.LBB3_3:                                ;   in Loop: Header=BB3_5 Depth=1
	s_or_b64 exec, exec, s[0:1]
	v_mov_b32_e32 v1, v5
	v_mov_b32_e32 v9, v8
	;; [unrolled: 1-line block ×3, first 2 shown]
.LBB3_4:                                ;   in Loop: Header=BB3_5 Depth=1
	s_or_b64 exec, exec, s[12:13]
	v_add_u32_e32 v7, 0x400, v7
	v_add_co_u32_e32 v3, vcc, 0x4000, v3
	v_cmp_le_i32_e64 s[0:1], s7, v7
	s_or_b64 s[8:9], s[0:1], s[8:9]
	v_addc_co_u32_e32 v4, vcc, 0, v4, vcc
	s_andn2_b64 exec, exec, s[8:9]
	s_cbranch_execz .LBB3_8
.LBB3_5:                                ; =>This Inner Loop Header: Depth=1
	global_load_dword v8, v[3:4], off offset:-8
	s_waitcnt vmcnt(0)
	v_cmp_ne_u32_e32 vcc, 0, v8
	s_and_saveexec_b64 s[12:13], vcc
	s_cbranch_execz .LBB3_4
; %bb.6:                                ;   in Loop: Header=BB3_5 Depth=1
	global_load_dwordx2 v[5:6], v[3:4], off
	v_cmp_ne_u32_e64 s[0:1], 0, v9
	s_waitcnt vmcnt(0)
	v_cmp_ngt_f64_e32 vcc, v[5:6], v[1:2]
	s_and_b64 s[14:15], s[0:1], vcc
	s_and_saveexec_b64 s[0:1], s[14:15]
	s_cbranch_execz .LBB3_3
; %bb.7:                                ;   in Loop: Header=BB3_5 Depth=1
	v_cmp_eq_f64_e32 vcc, v[1:2], v[5:6]
	v_min_i32_e32 v8, v8, v9
	v_mov_b32_e32 v6, v2
	v_mov_b32_e32 v5, v1
	v_cndmask_b32_e32 v8, v9, v8, vcc
	s_branch .LBB3_3
.LBB3_8:
	s_or_b64 exec, exec, s[8:9]
.LBB3_9:
	s_or_b64 exec, exec, s[4:5]
.LBB3_10:
	s_or_b64 exec, exec, s[2:3]
	v_and_b32_e32 v11, 63, v0
	v_cmp_gt_u32_e32 vcc, 64, v0
	v_lshlrev_b32_e32 v10, 4, v11
	s_and_saveexec_b64 s[0:1], vcc
	s_cbranch_execz .LBB3_12
; %bb.11:
	v_mov_b32_e32 v3, 0
	v_mov_b32_e32 v4, v3
	ds_write_b32 v10, v3
	ds_write_b64 v10, v[3:4] offset:8
.LBB3_12:
	s_or_b64 exec, exec, s[0:1]
	v_mbcnt_lo_u32_b32 v3, -1, 0
	v_mbcnt_hi_u32_b32 v12, -1, v3
	v_mov_b32_e32 v3, 0x80
	v_lshl_or_b32 v3, v12, 2, v3
	s_waitcnt vmcnt(1)
	ds_bpermute_b32 v7, v3, v9
	s_waitcnt vmcnt(0)
	ds_bpermute_b32 v5, v3, v1
	ds_bpermute_b32 v6, v3, v2
	v_mov_b32_e32 v4, v2
	v_mov_b32_e32 v3, v1
	s_waitcnt lgkmcnt(2)
	v_cmp_ne_u32_e64 s[0:1], 0, v7
	s_waitcnt lgkmcnt(0)
	s_barrier
	s_and_saveexec_b64 s[4:5], s[0:1]
	s_cbranch_execz .LBB3_16
; %bb.13:
	v_cmp_nlt_f64_e64 s[0:1], v[1:2], v[5:6]
	v_cmp_ne_u32_e64 s[2:3], 0, v9
	v_mov_b32_e32 v3, v5
	v_mov_b32_e32 v4, v6
	s_and_b64 s[0:1], s[2:3], s[0:1]
	s_and_saveexec_b64 s[2:3], s[0:1]
	s_cbranch_execz .LBB3_15
; %bb.14:
	v_cmp_eq_f64_e64 s[0:1], v[1:2], v[5:6]
	v_min_i32_e32 v3, v7, v9
	v_mov_b32_e32 v5, v1
	v_mov_b32_e32 v6, v2
	v_cndmask_b32_e64 v7, v9, v3, s[0:1]
	v_mov_b32_e32 v4, v2
	v_mov_b32_e32 v3, v1
.LBB3_15:
	s_or_b64 exec, exec, s[2:3]
	v_mov_b32_e32 v2, v6
	v_mov_b32_e32 v1, v5
	;; [unrolled: 1-line block ×3, first 2 shown]
.LBB3_16:
	s_or_b64 exec, exec, s[4:5]
	v_and_b32_e32 v16, 63, v12
	v_cmp_gt_u32_e64 s[0:1], 48, v16
	v_cndmask_b32_e64 v5, 0, 16, s[0:1]
	v_add_lshl_u32 v6, v5, v12, 2
	ds_bpermute_b32 v13, v6, v9
	ds_bpermute_b32 v5, v6, v1
	;; [unrolled: 1-line block ×3, first 2 shown]
	s_waitcnt lgkmcnt(2)
	v_cmp_ne_u32_e64 s[0:1], 0, v13
	s_and_saveexec_b64 s[4:5], s[0:1]
	s_cbranch_execz .LBB3_20
; %bb.17:
	s_waitcnt lgkmcnt(0)
	v_cmp_nlt_f64_e64 s[0:1], v[3:4], v[5:6]
	v_cmp_ne_u32_e64 s[2:3], 0, v9
	v_mov_b32_e32 v8, v6
	v_mov_b32_e32 v7, v5
	s_and_b64 s[0:1], s[2:3], s[0:1]
	s_and_saveexec_b64 s[2:3], s[0:1]
	s_cbranch_execz .LBB3_19
; %bb.18:
	v_cmp_eq_f64_e64 s[0:1], v[3:4], v[5:6]
	v_min_i32_e32 v7, v13, v9
	v_mov_b32_e32 v5, v1
	v_mov_b32_e32 v6, v2
	v_cndmask_b32_e64 v13, v9, v7, s[0:1]
	v_mov_b32_e32 v8, v4
	v_mov_b32_e32 v7, v3
.LBB3_19:
	s_or_b64 exec, exec, s[2:3]
	v_mov_b32_e32 v3, v7
	v_mov_b32_e32 v2, v6
	v_mov_b32_e32 v1, v5
	v_mov_b32_e32 v9, v13
	v_mov_b32_e32 v4, v8
.LBB3_20:
	s_or_b64 exec, exec, s[4:5]
	v_cmp_gt_u32_e64 s[0:1], 56, v16
	s_waitcnt lgkmcnt(1)
	v_cndmask_b32_e64 v5, 0, 8, s[0:1]
	v_add_lshl_u32 v13, v5, v12, 2
	ds_bpermute_b32 v14, v13, v9
	ds_bpermute_b32 v5, v13, v1
	s_waitcnt lgkmcnt(2)
	ds_bpermute_b32 v6, v13, v2
	s_waitcnt lgkmcnt(2)
	v_cmp_ne_u32_e64 s[0:1], 0, v14
	s_and_saveexec_b64 s[4:5], s[0:1]
	s_cbranch_execz .LBB3_24
; %bb.21:
	s_waitcnt lgkmcnt(0)
	v_cmp_nlt_f64_e64 s[0:1], v[3:4], v[5:6]
	v_cmp_ne_u32_e64 s[2:3], 0, v9
	v_mov_b32_e32 v8, v6
	v_mov_b32_e32 v7, v5
	s_and_b64 s[0:1], s[2:3], s[0:1]
	s_and_saveexec_b64 s[2:3], s[0:1]
	s_cbranch_execz .LBB3_23
; %bb.22:
	v_cmp_eq_f64_e64 s[0:1], v[3:4], v[5:6]
	v_min_i32_e32 v7, v14, v9
	v_mov_b32_e32 v5, v1
	v_mov_b32_e32 v6, v2
	v_cndmask_b32_e64 v14, v9, v7, s[0:1]
	v_mov_b32_e32 v8, v4
	v_mov_b32_e32 v7, v3
.LBB3_23:
	s_or_b64 exec, exec, s[2:3]
	v_mov_b32_e32 v3, v7
	v_mov_b32_e32 v2, v6
	v_mov_b32_e32 v1, v5
	v_mov_b32_e32 v9, v14
	v_mov_b32_e32 v4, v8
.LBB3_24:
	s_or_b64 exec, exec, s[4:5]
	v_cmp_gt_u32_e64 s[0:1], 60, v16
	s_waitcnt lgkmcnt(1)
	v_cndmask_b32_e64 v5, 0, 4, s[0:1]
	v_add_lshl_u32 v14, v5, v12, 2
	ds_bpermute_b32 v15, v14, v9
	ds_bpermute_b32 v5, v14, v1
	s_waitcnt lgkmcnt(2)
	ds_bpermute_b32 v6, v14, v2
	;; [unrolled: 38-line block ×3, first 2 shown]
	s_waitcnt lgkmcnt(2)
	v_cmp_ne_u32_e64 s[0:1], 0, v17
	s_and_saveexec_b64 s[4:5], s[0:1]
	s_cbranch_execz .LBB3_32
; %bb.29:
	s_waitcnt lgkmcnt(0)
	v_cmp_nlt_f64_e64 s[0:1], v[3:4], v[5:6]
	v_cmp_ne_u32_e64 s[2:3], 0, v9
	v_mov_b32_e32 v8, v6
	v_mov_b32_e32 v7, v5
	s_and_b64 s[0:1], s[2:3], s[0:1]
	s_and_saveexec_b64 s[2:3], s[0:1]
	s_cbranch_execz .LBB3_31
; %bb.30:
	v_cmp_eq_f64_e64 s[0:1], v[3:4], v[5:6]
	v_min_i32_e32 v7, v17, v9
	v_mov_b32_e32 v5, v1
	v_mov_b32_e32 v6, v2
	v_cndmask_b32_e64 v17, v9, v7, s[0:1]
	v_mov_b32_e32 v8, v4
	v_mov_b32_e32 v7, v3
.LBB3_31:
	s_or_b64 exec, exec, s[2:3]
	v_mov_b32_e32 v3, v7
	v_mov_b32_e32 v2, v6
	;; [unrolled: 1-line block ×5, first 2 shown]
.LBB3_32:
	s_or_b64 exec, exec, s[4:5]
	v_cmp_ne_u32_e64 s[0:1], 63, v16
	s_waitcnt lgkmcnt(1)
	v_addc_co_u32_e64 v5, s[0:1], 0, v12, s[0:1]
	v_lshlrev_b32_e32 v12, 2, v5
	ds_bpermute_b32 v5, v12, v9
	ds_bpermute_b32 v1, v12, v1
	;; [unrolled: 1-line block ×3, first 2 shown]
	s_waitcnt lgkmcnt(2)
	v_cmp_ne_u32_e64 s[0:1], 0, v5
	s_and_saveexec_b64 s[8:9], s[0:1]
	s_cbranch_execz .LBB3_34
; %bb.33:
	s_waitcnt lgkmcnt(0)
	v_cmp_lt_f64_e64 s[0:1], v[3:4], v[1:2]
	v_cmp_eq_f64_e64 s[4:5], v[3:4], v[1:2]
	v_cmp_eq_u32_e64 s[2:3], 0, v9
	v_min_i32_e32 v6, v5, v9
	s_or_b64 s[0:1], s[2:3], s[0:1]
	v_cndmask_b32_e64 v6, v9, v6, s[4:5]
	v_cndmask_b32_e64 v9, v6, v5, s[0:1]
	;; [unrolled: 1-line block ×4, first 2 shown]
.LBB3_34:
	s_or_b64 exec, exec, s[8:9]
	v_cmp_eq_u32_e64 s[0:1], 0, v11
	s_and_saveexec_b64 s[2:3], s[0:1]
	s_cbranch_execz .LBB3_36
; %bb.35:
	s_waitcnt lgkmcnt(1)
	v_lshrrev_b32_e32 v1, 2, v0
	v_and_b32_e32 v1, 0xf0, v1
	ds_write_b32 v1, v9
	ds_write_b64 v1, v[3:4] offset:8
.LBB3_36:
	s_or_b64 exec, exec, s[2:3]
	s_waitcnt lgkmcnt(0)
	v_mov_b32_e32 v1, 0
	v_cmp_gt_u32_e64 s[0:1], 16, v0
	v_mov_b32_e32 v2, 0
	v_mov_b32_e32 v9, 0
	s_barrier
	s_and_saveexec_b64 s[2:3], s[0:1]
	s_cbranch_execz .LBB3_38
; %bb.37:
	ds_read_b32 v9, v10
	ds_read_b64 v[1:2], v10 offset:8
.LBB3_38:
	s_or_b64 exec, exec, s[2:3]
	s_and_saveexec_b64 s[4:5], vcc
	s_cbranch_execz .LBB3_54
; %bb.39:
	s_waitcnt lgkmcnt(1)
	ds_bpermute_b32 v7, v13, v9
	s_waitcnt lgkmcnt(1)
	ds_bpermute_b32 v5, v13, v1
	ds_bpermute_b32 v6, v13, v2
	v_mov_b32_e32 v4, v2
	v_mov_b32_e32 v3, v1
	s_waitcnt lgkmcnt(2)
	v_cmp_ne_u32_e32 vcc, 0, v7
	s_and_saveexec_b64 s[2:3], vcc
	s_cbranch_execz .LBB3_43
; %bb.40:
	s_waitcnt lgkmcnt(0)
	v_cmp_nlt_f64_e32 vcc, v[1:2], v[5:6]
	v_cmp_ne_u32_e64 s[0:1], 0, v9
	v_mov_b32_e32 v3, v5
	v_mov_b32_e32 v4, v6
	s_and_b64 s[8:9], s[0:1], vcc
	s_and_saveexec_b64 s[0:1], s[8:9]
	s_cbranch_execz .LBB3_42
; %bb.41:
	v_cmp_eq_f64_e32 vcc, v[1:2], v[5:6]
	v_min_i32_e32 v3, v7, v9
	v_mov_b32_e32 v5, v1
	v_mov_b32_e32 v6, v2
	v_cndmask_b32_e32 v7, v9, v3, vcc
	v_mov_b32_e32 v4, v2
	v_mov_b32_e32 v3, v1
.LBB3_42:
	s_or_b64 exec, exec, s[0:1]
	v_mov_b32_e32 v2, v6
	v_mov_b32_e32 v1, v5
	;; [unrolled: 1-line block ×3, first 2 shown]
.LBB3_43:
	s_or_b64 exec, exec, s[2:3]
	ds_bpermute_b32 v10, v14, v9
	s_waitcnt lgkmcnt(2)
	ds_bpermute_b32 v5, v14, v1
	s_waitcnt lgkmcnt(2)
	;; [unrolled: 2-line block ×3, first 2 shown]
	v_cmp_ne_u32_e32 vcc, 0, v10
	s_and_saveexec_b64 s[2:3], vcc
	s_cbranch_execz .LBB3_47
; %bb.44:
	s_waitcnt lgkmcnt(0)
	v_cmp_nlt_f64_e32 vcc, v[3:4], v[5:6]
	v_cmp_ne_u32_e64 s[0:1], 0, v9
	v_mov_b32_e32 v8, v6
	v_mov_b32_e32 v7, v5
	s_and_b64 s[8:9], s[0:1], vcc
	s_and_saveexec_b64 s[0:1], s[8:9]
	s_cbranch_execz .LBB3_46
; %bb.45:
	v_cmp_eq_f64_e32 vcc, v[3:4], v[5:6]
	v_min_i32_e32 v7, v10, v9
	v_mov_b32_e32 v5, v1
	v_mov_b32_e32 v6, v2
	v_cndmask_b32_e32 v10, v9, v7, vcc
	v_mov_b32_e32 v8, v4
	v_mov_b32_e32 v7, v3
.LBB3_46:
	s_or_b64 exec, exec, s[0:1]
	v_mov_b32_e32 v3, v7
	v_mov_b32_e32 v2, v6
	;; [unrolled: 1-line block ×5, first 2 shown]
.LBB3_47:
	s_or_b64 exec, exec, s[2:3]
	ds_bpermute_b32 v10, v15, v9
	s_waitcnt lgkmcnt(2)
	ds_bpermute_b32 v5, v15, v1
	s_waitcnt lgkmcnt(2)
	;; [unrolled: 2-line block ×3, first 2 shown]
	v_cmp_ne_u32_e32 vcc, 0, v10
	s_and_saveexec_b64 s[2:3], vcc
	s_cbranch_execz .LBB3_51
; %bb.48:
	s_waitcnt lgkmcnt(0)
	v_cmp_nlt_f64_e32 vcc, v[3:4], v[5:6]
	v_cmp_ne_u32_e64 s[0:1], 0, v9
	v_mov_b32_e32 v8, v6
	v_mov_b32_e32 v7, v5
	s_and_b64 s[8:9], s[0:1], vcc
	s_and_saveexec_b64 s[0:1], s[8:9]
	s_cbranch_execz .LBB3_50
; %bb.49:
	v_cmp_eq_f64_e32 vcc, v[3:4], v[5:6]
	v_min_i32_e32 v7, v10, v9
	v_mov_b32_e32 v5, v1
	v_mov_b32_e32 v6, v2
	v_cndmask_b32_e32 v10, v9, v7, vcc
	v_mov_b32_e32 v8, v4
	v_mov_b32_e32 v7, v3
.LBB3_50:
	s_or_b64 exec, exec, s[0:1]
	v_mov_b32_e32 v3, v7
	v_mov_b32_e32 v2, v6
	;; [unrolled: 1-line block ×5, first 2 shown]
.LBB3_51:
	s_or_b64 exec, exec, s[2:3]
	s_waitcnt lgkmcnt(1)
	ds_bpermute_b32 v5, v12, v9
	ds_bpermute_b32 v1, v12, v1
	;; [unrolled: 1-line block ×3, first 2 shown]
	s_waitcnt lgkmcnt(2)
	v_cmp_ne_u32_e32 vcc, 0, v5
	s_and_saveexec_b64 s[8:9], vcc
	s_cbranch_execz .LBB3_53
; %bb.52:
	s_waitcnt lgkmcnt(0)
	v_cmp_lt_f64_e32 vcc, v[3:4], v[1:2]
	v_cmp_eq_f64_e64 s[2:3], v[3:4], v[1:2]
	v_cmp_eq_u32_e64 s[0:1], 0, v9
	v_min_i32_e32 v6, v5, v9
	s_or_b64 vcc, s[0:1], vcc
	v_cndmask_b32_e64 v1, v9, v6, s[2:3]
	v_cndmask_b32_e32 v9, v1, v5, vcc
.LBB3_53:
	s_or_b64 exec, exec, s[8:9]
.LBB3_54:
	s_or_b64 exec, exec, s[4:5]
	s_mov_b32 s7, 0
	v_cmp_eq_u32_e32 vcc, 0, v0
	s_and_saveexec_b64 s[0:1], vcc
	s_cbranch_execz .LBB3_56
; %bb.55:
	s_lshl_b64 s[0:1], s[6:7], 2
	s_add_u32 s0, s10, s0
	s_addc_u32 s1, s11, s1
	v_mov_b32_e32 v0, 0
	s_waitcnt lgkmcnt(1)
	global_store_dword v0, v9, s[0:1]
.LBB3_56:
	s_endpgm
	.section	.rodata,"a",@progbits
	.p2align	6, 0x0
	.amdhsa_kernel _ZL32rocblas_iamax_iamin_kernel_part2ILi1024E19rocblas_reduce_amax21rocblas_index_value_tIdEiEviPT1_PT2_
		.amdhsa_group_segment_fixed_size 1024
		.amdhsa_private_segment_fixed_size 0
		.amdhsa_kernarg_size 24
		.amdhsa_user_sgpr_count 6
		.amdhsa_user_sgpr_private_segment_buffer 1
		.amdhsa_user_sgpr_dispatch_ptr 0
		.amdhsa_user_sgpr_queue_ptr 0
		.amdhsa_user_sgpr_kernarg_segment_ptr 1
		.amdhsa_user_sgpr_dispatch_id 0
		.amdhsa_user_sgpr_flat_scratch_init 0
		.amdhsa_user_sgpr_private_segment_size 0
		.amdhsa_uses_dynamic_stack 0
		.amdhsa_system_sgpr_private_segment_wavefront_offset 0
		.amdhsa_system_sgpr_workgroup_id_x 1
		.amdhsa_system_sgpr_workgroup_id_y 0
		.amdhsa_system_sgpr_workgroup_id_z 0
		.amdhsa_system_sgpr_workgroup_info 0
		.amdhsa_system_vgpr_workitem_id 0
		.amdhsa_next_free_vgpr 18
		.amdhsa_next_free_sgpr 16
		.amdhsa_reserve_vcc 1
		.amdhsa_reserve_flat_scratch 0
		.amdhsa_float_round_mode_32 0
		.amdhsa_float_round_mode_16_64 0
		.amdhsa_float_denorm_mode_32 3
		.amdhsa_float_denorm_mode_16_64 3
		.amdhsa_dx10_clamp 1
		.amdhsa_ieee_mode 1
		.amdhsa_fp16_overflow 0
		.amdhsa_exception_fp_ieee_invalid_op 0
		.amdhsa_exception_fp_denorm_src 0
		.amdhsa_exception_fp_ieee_div_zero 0
		.amdhsa_exception_fp_ieee_overflow 0
		.amdhsa_exception_fp_ieee_underflow 0
		.amdhsa_exception_fp_ieee_inexact 0
		.amdhsa_exception_int_div_zero 0
	.end_amdhsa_kernel
	.section	.text._ZL32rocblas_iamax_iamin_kernel_part2ILi1024E19rocblas_reduce_amax21rocblas_index_value_tIdEiEviPT1_PT2_,"axG",@progbits,_ZL32rocblas_iamax_iamin_kernel_part2ILi1024E19rocblas_reduce_amax21rocblas_index_value_tIdEiEviPT1_PT2_,comdat
.Lfunc_end3:
	.size	_ZL32rocblas_iamax_iamin_kernel_part2ILi1024E19rocblas_reduce_amax21rocblas_index_value_tIdEiEviPT1_PT2_, .Lfunc_end3-_ZL32rocblas_iamax_iamin_kernel_part2ILi1024E19rocblas_reduce_amax21rocblas_index_value_tIdEiEviPT1_PT2_
                                        ; -- End function
	.set _ZL32rocblas_iamax_iamin_kernel_part2ILi1024E19rocblas_reduce_amax21rocblas_index_value_tIdEiEviPT1_PT2_.num_vgpr, 18
	.set _ZL32rocblas_iamax_iamin_kernel_part2ILi1024E19rocblas_reduce_amax21rocblas_index_value_tIdEiEviPT1_PT2_.num_agpr, 0
	.set _ZL32rocblas_iamax_iamin_kernel_part2ILi1024E19rocblas_reduce_amax21rocblas_index_value_tIdEiEviPT1_PT2_.numbered_sgpr, 16
	.set _ZL32rocblas_iamax_iamin_kernel_part2ILi1024E19rocblas_reduce_amax21rocblas_index_value_tIdEiEviPT1_PT2_.num_named_barrier, 0
	.set _ZL32rocblas_iamax_iamin_kernel_part2ILi1024E19rocblas_reduce_amax21rocblas_index_value_tIdEiEviPT1_PT2_.private_seg_size, 0
	.set _ZL32rocblas_iamax_iamin_kernel_part2ILi1024E19rocblas_reduce_amax21rocblas_index_value_tIdEiEviPT1_PT2_.uses_vcc, 1
	.set _ZL32rocblas_iamax_iamin_kernel_part2ILi1024E19rocblas_reduce_amax21rocblas_index_value_tIdEiEviPT1_PT2_.uses_flat_scratch, 0
	.set _ZL32rocblas_iamax_iamin_kernel_part2ILi1024E19rocblas_reduce_amax21rocblas_index_value_tIdEiEviPT1_PT2_.has_dyn_sized_stack, 0
	.set _ZL32rocblas_iamax_iamin_kernel_part2ILi1024E19rocblas_reduce_amax21rocblas_index_value_tIdEiEviPT1_PT2_.has_recursion, 0
	.set _ZL32rocblas_iamax_iamin_kernel_part2ILi1024E19rocblas_reduce_amax21rocblas_index_value_tIdEiEviPT1_PT2_.has_indirect_call, 0
	.section	.AMDGPU.csdata,"",@progbits
; Kernel info:
; codeLenInByte = 2068
; TotalNumSgprs: 20
; NumVgprs: 18
; ScratchSize: 0
; MemoryBound: 0
; FloatMode: 240
; IeeeMode: 1
; LDSByteSize: 1024 bytes/workgroup (compile time only)
; SGPRBlocks: 2
; VGPRBlocks: 4
; NumSGPRsForWavesPerEU: 20
; NumVGPRsForWavesPerEU: 18
; Occupancy: 10
; WaveLimiterHint : 0
; COMPUTE_PGM_RSRC2:SCRATCH_EN: 0
; COMPUTE_PGM_RSRC2:USER_SGPR: 6
; COMPUTE_PGM_RSRC2:TRAP_HANDLER: 0
; COMPUTE_PGM_RSRC2:TGID_X_EN: 1
; COMPUTE_PGM_RSRC2:TGID_Y_EN: 0
; COMPUTE_PGM_RSRC2:TGID_Z_EN: 0
; COMPUTE_PGM_RSRC2:TIDIG_COMP_CNT: 0
	.section	.text._ZL32rocblas_iamax_iamin_kernel_part1ILi1024E23rocblas_fetch_amax_aminIfE19rocblas_reduce_amaxPK19rocblas_complex_numIfE21rocblas_index_value_tIfEEviiT2_liliPT3_,"axG",@progbits,_ZL32rocblas_iamax_iamin_kernel_part1ILi1024E23rocblas_fetch_amax_aminIfE19rocblas_reduce_amaxPK19rocblas_complex_numIfE21rocblas_index_value_tIfEEviiT2_liliPT3_,comdat
	.globl	_ZL32rocblas_iamax_iamin_kernel_part1ILi1024E23rocblas_fetch_amax_aminIfE19rocblas_reduce_amaxPK19rocblas_complex_numIfE21rocblas_index_value_tIfEEviiT2_liliPT3_ ; -- Begin function _ZL32rocblas_iamax_iamin_kernel_part1ILi1024E23rocblas_fetch_amax_aminIfE19rocblas_reduce_amaxPK19rocblas_complex_numIfE21rocblas_index_value_tIfEEviiT2_liliPT3_
	.p2align	8
	.type	_ZL32rocblas_iamax_iamin_kernel_part1ILi1024E23rocblas_fetch_amax_aminIfE19rocblas_reduce_amaxPK19rocblas_complex_numIfE21rocblas_index_value_tIfEEviiT2_liliPT3_,@function
_ZL32rocblas_iamax_iamin_kernel_part1ILi1024E23rocblas_fetch_amax_aminIfE19rocblas_reduce_amaxPK19rocblas_complex_numIfE21rocblas_index_value_tIfEEviiT2_liliPT3_: ; @_ZL32rocblas_iamax_iamin_kernel_part1ILi1024E23rocblas_fetch_amax_aminIfE19rocblas_reduce_amaxPK19rocblas_complex_numIfE21rocblas_index_value_tIfEEviiT2_liliPT3_
; %bb.0:
	s_load_dwordx2 s[10:11], s[4:5], 0x0
	v_lshl_or_b32 v1, s6, 10, v0
	v_mov_b32_e32 v2, 0
                                        ; implicit-def: $vgpr3
	s_waitcnt lgkmcnt(0)
	s_ashr_i32 s1, s10, 31
	s_mov_b32 s0, s10
	v_cmp_gt_i64_e32 vcc, s[0:1], v[1:2]
	s_and_saveexec_b64 s[0:1], vcc
	s_cbranch_execz .LBB4_2
; %bb.1:
	s_load_dword s8, s[4:5], 0x18
	s_load_dwordx2 s[2:3], s[4:5], 0x20
	s_load_dwordx4 s[12:15], s[4:5], 0x8
	s_waitcnt lgkmcnt(0)
	s_ashr_i32 s10, s8, 31
	s_mul_i32 s3, s3, s7
	s_mul_hi_u32 s9, s2, s7
	s_add_i32 s3, s9, s3
	v_mad_u64_u32 v[2:3], s[8:9], s8, v1, 0
	s_mul_i32 s2, s2, s7
	s_lshl_b64 s[2:3], s[2:3], 3
	s_add_u32 s8, s12, s2
	s_addc_u32 s9, s13, s3
	v_mad_u64_u32 v[3:4], s[2:3], s10, v1, v[3:4]
	s_lshl_b64 s[2:3], s[14:15], 3
	s_add_u32 s2, s8, s2
	v_lshlrev_b64 v[2:3], 3, v[2:3]
	s_addc_u32 s3, s9, s3
	v_mov_b32_e32 v4, s3
	v_add_co_u32_e32 v2, vcc, s2, v2
	v_addc_co_u32_e32 v3, vcc, v4, v3, vcc
	global_load_dwordx2 v[3:4], v[2:3], off
	v_add_u32_e32 v2, 1, v1
	s_waitcnt vmcnt(0)
	v_cmp_gt_f32_e32 vcc, 0, v3
	v_cndmask_b32_e64 v1, v3, -v3, vcc
	v_cmp_gt_f32_e32 vcc, 0, v4
	v_cndmask_b32_e64 v3, v4, -v4, vcc
	v_add_f32_e32 v3, v1, v3
.LBB4_2:
	s_or_b64 exec, exec, s[0:1]
	v_and_b32_e32 v1, 63, v0
	v_cmp_gt_u32_e32 vcc, 64, v0
	v_lshlrev_b32_e32 v4, 3, v1
	s_and_saveexec_b64 s[0:1], vcc
; %bb.3:
	v_mov_b32_e32 v5, 0
	v_mov_b32_e32 v6, v5
	ds_write_b64 v4, v[5:6]
; %bb.4:
	s_or_b64 exec, exec, s[0:1]
	v_mbcnt_lo_u32_b32 v5, -1, 0
	v_mbcnt_hi_u32_b32 v5, -1, v5
	v_mov_b32_e32 v6, 0x80
	v_lshl_or_b32 v7, v5, 2, v6
	ds_bpermute_b32 v6, v7, v2
	ds_bpermute_b32 v7, v7, v3
	s_waitcnt lgkmcnt(0)
	s_barrier
	v_cmp_ne_u32_e64 s[0:1], 0, v6
	s_and_saveexec_b64 s[12:13], s[0:1]
; %bb.5:
	v_cmp_eq_u32_e64 s[0:1], 0, v2
	v_cmp_lt_f32_e64 s[2:3], v3, v7
	v_min_i32_e32 v8, v6, v2
	v_cmp_eq_f32_e64 s[8:9], v3, v7
	v_cndmask_b32_e64 v2, v2, v8, s[8:9]
	s_or_b64 s[0:1], s[0:1], s[2:3]
	v_cndmask_b32_e64 v2, v2, v6, s[0:1]
	v_cndmask_b32_e64 v3, v3, v7, s[0:1]
; %bb.6:
	s_or_b64 exec, exec, s[12:13]
	v_and_b32_e32 v9, 63, v5
	v_cmp_gt_u32_e64 s[0:1], 48, v9
	v_cndmask_b32_e64 v6, 0, 16, s[0:1]
	v_add_lshl_u32 v7, v6, v5, 2
	ds_bpermute_b32 v6, v7, v2
	ds_bpermute_b32 v7, v7, v3
	v_mov_b32_e32 v10, v3
	s_waitcnt lgkmcnt(1)
	v_cmp_ne_u32_e64 s[0:1], 0, v6
	s_and_saveexec_b64 s[8:9], s[0:1]
	s_cbranch_execz .LBB4_10
; %bb.7:
	v_cmp_ne_u32_e64 s[0:1], 0, v2
	s_waitcnt lgkmcnt(0)
	v_cmp_nlt_f32_e64 s[2:3], v3, v7
	s_and_b64 s[0:1], s[0:1], s[2:3]
	s_and_saveexec_b64 s[2:3], s[0:1]
; %bb.8:
	v_min_i32_e32 v6, v6, v2
	v_cmp_eq_f32_e64 s[0:1], v3, v7
	v_cndmask_b32_e64 v6, v2, v6, s[0:1]
	v_mov_b32_e32 v7, v3
; %bb.9:
	s_or_b64 exec, exec, s[2:3]
	v_mov_b32_e32 v3, v7
	v_mov_b32_e32 v2, v6
	;; [unrolled: 1-line block ×3, first 2 shown]
.LBB4_10:
	s_or_b64 exec, exec, s[8:9]
	v_cmp_gt_u32_e64 s[0:1], 56, v9
	v_cndmask_b32_e64 v6, 0, 8, s[0:1]
	v_add_lshl_u32 v6, v6, v5, 2
	s_waitcnt lgkmcnt(0)
	ds_bpermute_b32 v7, v6, v2
	ds_bpermute_b32 v8, v6, v3
	s_waitcnt lgkmcnt(1)
	v_cmp_ne_u32_e64 s[0:1], 0, v7
	s_and_saveexec_b64 s[8:9], s[0:1]
	s_cbranch_execz .LBB4_14
; %bb.11:
	v_cmp_ne_u32_e64 s[0:1], 0, v2
	s_waitcnt lgkmcnt(0)
	v_cmp_nlt_f32_e64 s[2:3], v10, v8
	s_and_b64 s[0:1], s[0:1], s[2:3]
	v_mov_b32_e32 v11, v8
	s_and_saveexec_b64 s[2:3], s[0:1]
; %bb.12:
	v_min_i32_e32 v7, v7, v2
	v_cmp_eq_f32_e64 s[0:1], v10, v8
	v_cndmask_b32_e64 v7, v2, v7, s[0:1]
	v_mov_b32_e32 v11, v10
	v_mov_b32_e32 v8, v3
; %bb.13:
	s_or_b64 exec, exec, s[2:3]
	v_mov_b32_e32 v3, v8
	v_mov_b32_e32 v2, v7
	v_mov_b32_e32 v10, v11
.LBB4_14:
	s_or_b64 exec, exec, s[8:9]
	v_cmp_gt_u32_e64 s[0:1], 60, v9
	v_cndmask_b32_e64 v7, 0, 4, s[0:1]
	v_add_lshl_u32 v7, v7, v5, 2
	s_waitcnt lgkmcnt(0)
	ds_bpermute_b32 v8, v7, v2
	ds_bpermute_b32 v11, v7, v3
	s_waitcnt lgkmcnt(1)
	v_cmp_ne_u32_e64 s[0:1], 0, v8
	s_and_saveexec_b64 s[8:9], s[0:1]
	s_cbranch_execz .LBB4_18
; %bb.15:
	v_cmp_ne_u32_e64 s[0:1], 0, v2
	s_waitcnt lgkmcnt(0)
	v_cmp_nlt_f32_e64 s[2:3], v10, v11
	s_and_b64 s[0:1], s[0:1], s[2:3]
	v_mov_b32_e32 v12, v11
	s_and_saveexec_b64 s[2:3], s[0:1]
; %bb.16:
	v_min_i32_e32 v8, v8, v2
	v_cmp_eq_f32_e64 s[0:1], v10, v11
	v_cndmask_b32_e64 v8, v2, v8, s[0:1]
	v_mov_b32_e32 v12, v10
	v_mov_b32_e32 v11, v3
; %bb.17:
	s_or_b64 exec, exec, s[2:3]
	v_mov_b32_e32 v3, v11
	v_mov_b32_e32 v2, v8
	v_mov_b32_e32 v10, v12
.LBB4_18:
	;; [unrolled: 30-line block ×3, first 2 shown]
	s_or_b64 exec, exec, s[8:9]
	v_cmp_ne_u32_e64 s[0:1], 63, v9
	v_addc_co_u32_e64 v5, s[0:1], 0, v5, s[0:1]
	v_lshlrev_b32_e32 v5, 2, v5
	ds_bpermute_b32 v9, v5, v2
	ds_bpermute_b32 v11, v5, v3
	s_waitcnt lgkmcnt(1)
	v_cmp_ne_u32_e64 s[0:1], 0, v9
	s_and_saveexec_b64 s[12:13], s[0:1]
	s_cbranch_execz .LBB4_24
; %bb.23:
	v_cmp_eq_u32_e64 s[0:1], 0, v2
	s_waitcnt lgkmcnt(0)
	v_cmp_lt_f32_e64 s[2:3], v10, v11
	v_min_i32_e32 v12, v9, v2
	v_cmp_eq_f32_e64 s[8:9], v10, v11
	v_cndmask_b32_e64 v2, v2, v12, s[8:9]
	s_or_b64 s[0:1], s[0:1], s[2:3]
	v_cndmask_b32_e64 v3, v3, v11, s[0:1]
	v_cndmask_b32_e64 v2, v2, v9, s[0:1]
.LBB4_24:
	s_or_b64 exec, exec, s[12:13]
	v_cmp_eq_u32_e64 s[0:1], 0, v1
	s_and_saveexec_b64 s[2:3], s[0:1]
; %bb.25:
	v_lshrrev_b32_e32 v1, 3, v0
	v_and_b32_e32 v1, 0x78, v1
	ds_write_b64 v1, v[2:3]
; %bb.26:
	s_or_b64 exec, exec, s[2:3]
	v_cmp_gt_u32_e64 s[0:1], 16, v0
	v_mov_b32_e32 v1, 0
	v_mov_b32_e32 v2, 0
	s_waitcnt lgkmcnt(0)
	s_barrier
	s_and_saveexec_b64 s[2:3], s[0:1]
; %bb.27:
	ds_read_b64 v[1:2], v4
; %bb.28:
	s_or_b64 exec, exec, s[2:3]
	s_and_saveexec_b64 s[8:9], vcc
	s_cbranch_execz .LBB4_42
; %bb.29:
	s_waitcnt lgkmcnt(0)
	ds_bpermute_b32 v3, v6, v1
	ds_bpermute_b32 v4, v6, v2
	s_waitcnt lgkmcnt(1)
	v_cmp_ne_u32_e32 vcc, 0, v3
	s_and_saveexec_b64 s[12:13], vcc
	s_cbranch_execz .LBB4_31
; %bb.30:
	v_cmp_eq_u32_e32 vcc, 0, v1
	s_waitcnt lgkmcnt(0)
	v_cmp_lt_f32_e64 s[0:1], v2, v4
	v_min_i32_e32 v6, v3, v1
	v_cmp_eq_f32_e64 s[2:3], v2, v4
	v_cndmask_b32_e64 v1, v1, v6, s[2:3]
	s_or_b64 vcc, vcc, s[0:1]
	v_cndmask_b32_e32 v1, v1, v3, vcc
	v_cndmask_b32_e32 v2, v2, v4, vcc
.LBB4_31:
	s_or_b64 exec, exec, s[12:13]
	s_waitcnt lgkmcnt(0)
	ds_bpermute_b32 v4, v7, v1
	ds_bpermute_b32 v6, v7, v2
	v_mov_b32_e32 v3, v2
	s_waitcnt lgkmcnt(1)
	v_cmp_ne_u32_e32 vcc, 0, v4
	s_and_saveexec_b64 s[2:3], vcc
	s_cbranch_execz .LBB4_35
; %bb.32:
	v_cmp_ne_u32_e32 vcc, 0, v1
	s_waitcnt lgkmcnt(0)
	v_cmp_nlt_f32_e64 s[0:1], v2, v6
	s_and_b64 s[12:13], vcc, s[0:1]
	s_and_saveexec_b64 s[0:1], s[12:13]
; %bb.33:
	v_min_i32_e32 v3, v4, v1
	v_cmp_eq_f32_e32 vcc, v2, v6
	v_cndmask_b32_e32 v4, v1, v3, vcc
	v_mov_b32_e32 v6, v2
; %bb.34:
	s_or_b64 exec, exec, s[0:1]
	v_mov_b32_e32 v2, v6
	v_mov_b32_e32 v1, v4
	;; [unrolled: 1-line block ×3, first 2 shown]
.LBB4_35:
	s_or_b64 exec, exec, s[2:3]
	ds_bpermute_b32 v4, v8, v1
	s_waitcnt lgkmcnt(1)
	ds_bpermute_b32 v6, v8, v2
	s_waitcnt lgkmcnt(1)
	v_cmp_ne_u32_e32 vcc, 0, v4
	s_and_saveexec_b64 s[2:3], vcc
	s_cbranch_execz .LBB4_39
; %bb.36:
	v_cmp_ne_u32_e32 vcc, 0, v1
	s_waitcnt lgkmcnt(0)
	v_cmp_nlt_f32_e64 s[0:1], v3, v6
	s_and_b64 s[12:13], vcc, s[0:1]
	v_mov_b32_e32 v7, v6
	s_and_saveexec_b64 s[0:1], s[12:13]
; %bb.37:
	v_min_i32_e32 v4, v4, v1
	v_cmp_eq_f32_e32 vcc, v3, v6
	v_cndmask_b32_e32 v4, v1, v4, vcc
	v_mov_b32_e32 v7, v3
	v_mov_b32_e32 v6, v2
; %bb.38:
	s_or_b64 exec, exec, s[0:1]
	v_mov_b32_e32 v2, v6
	v_mov_b32_e32 v1, v4
	v_mov_b32_e32 v3, v7
.LBB4_39:
	s_or_b64 exec, exec, s[2:3]
	ds_bpermute_b32 v4, v5, v1
	ds_bpermute_b32 v5, v5, v2
	s_waitcnt lgkmcnt(1)
	v_cmp_ne_u32_e32 vcc, 0, v4
	s_and_saveexec_b64 s[12:13], vcc
	s_cbranch_execz .LBB4_41
; %bb.40:
	v_cmp_eq_u32_e32 vcc, 0, v1
	s_waitcnt lgkmcnt(0)
	v_cmp_lt_f32_e64 s[0:1], v3, v5
	v_min_i32_e32 v6, v4, v1
	v_cmp_eq_f32_e64 s[2:3], v3, v5
	v_cndmask_b32_e64 v1, v1, v6, s[2:3]
	s_or_b64 vcc, vcc, s[0:1]
	v_cndmask_b32_e32 v2, v2, v5, vcc
	v_cndmask_b32_e32 v1, v1, v4, vcc
.LBB4_41:
	s_or_b64 exec, exec, s[12:13]
.LBB4_42:
	s_or_b64 exec, exec, s[8:9]
	s_mov_b32 s1, 0
	v_cmp_eq_u32_e32 vcc, 0, v0
	s_and_saveexec_b64 s[2:3], vcc
	s_cbranch_execz .LBB4_44
; %bb.43:
	s_load_dwordx2 s[2:3], s[4:5], 0x30
	s_mul_i32 s0, s11, s7
	s_add_i32 s0, s0, s6
	s_lshl_b64 s[0:1], s[0:1], 3
	v_mov_b32_e32 v0, 0
	s_waitcnt lgkmcnt(0)
	s_add_u32 s0, s2, s0
	s_addc_u32 s1, s3, s1
	global_store_dwordx2 v0, v[1:2], s[0:1]
.LBB4_44:
	s_endpgm
	.section	.rodata,"a",@progbits
	.p2align	6, 0x0
	.amdhsa_kernel _ZL32rocblas_iamax_iamin_kernel_part1ILi1024E23rocblas_fetch_amax_aminIfE19rocblas_reduce_amaxPK19rocblas_complex_numIfE21rocblas_index_value_tIfEEviiT2_liliPT3_
		.amdhsa_group_segment_fixed_size 512
		.amdhsa_private_segment_fixed_size 0
		.amdhsa_kernarg_size 56
		.amdhsa_user_sgpr_count 6
		.amdhsa_user_sgpr_private_segment_buffer 1
		.amdhsa_user_sgpr_dispatch_ptr 0
		.amdhsa_user_sgpr_queue_ptr 0
		.amdhsa_user_sgpr_kernarg_segment_ptr 1
		.amdhsa_user_sgpr_dispatch_id 0
		.amdhsa_user_sgpr_flat_scratch_init 0
		.amdhsa_user_sgpr_private_segment_size 0
		.amdhsa_uses_dynamic_stack 0
		.amdhsa_system_sgpr_private_segment_wavefront_offset 0
		.amdhsa_system_sgpr_workgroup_id_x 1
		.amdhsa_system_sgpr_workgroup_id_y 0
		.amdhsa_system_sgpr_workgroup_id_z 1
		.amdhsa_system_sgpr_workgroup_info 0
		.amdhsa_system_vgpr_workitem_id 0
		.amdhsa_next_free_vgpr 14
		.amdhsa_next_free_sgpr 16
		.amdhsa_reserve_vcc 1
		.amdhsa_reserve_flat_scratch 0
		.amdhsa_float_round_mode_32 0
		.amdhsa_float_round_mode_16_64 0
		.amdhsa_float_denorm_mode_32 3
		.amdhsa_float_denorm_mode_16_64 3
		.amdhsa_dx10_clamp 1
		.amdhsa_ieee_mode 1
		.amdhsa_fp16_overflow 0
		.amdhsa_exception_fp_ieee_invalid_op 0
		.amdhsa_exception_fp_denorm_src 0
		.amdhsa_exception_fp_ieee_div_zero 0
		.amdhsa_exception_fp_ieee_overflow 0
		.amdhsa_exception_fp_ieee_underflow 0
		.amdhsa_exception_fp_ieee_inexact 0
		.amdhsa_exception_int_div_zero 0
	.end_amdhsa_kernel
	.section	.text._ZL32rocblas_iamax_iamin_kernel_part1ILi1024E23rocblas_fetch_amax_aminIfE19rocblas_reduce_amaxPK19rocblas_complex_numIfE21rocblas_index_value_tIfEEviiT2_liliPT3_,"axG",@progbits,_ZL32rocblas_iamax_iamin_kernel_part1ILi1024E23rocblas_fetch_amax_aminIfE19rocblas_reduce_amaxPK19rocblas_complex_numIfE21rocblas_index_value_tIfEEviiT2_liliPT3_,comdat
.Lfunc_end4:
	.size	_ZL32rocblas_iamax_iamin_kernel_part1ILi1024E23rocblas_fetch_amax_aminIfE19rocblas_reduce_amaxPK19rocblas_complex_numIfE21rocblas_index_value_tIfEEviiT2_liliPT3_, .Lfunc_end4-_ZL32rocblas_iamax_iamin_kernel_part1ILi1024E23rocblas_fetch_amax_aminIfE19rocblas_reduce_amaxPK19rocblas_complex_numIfE21rocblas_index_value_tIfEEviiT2_liliPT3_
                                        ; -- End function
	.set _ZL32rocblas_iamax_iamin_kernel_part1ILi1024E23rocblas_fetch_amax_aminIfE19rocblas_reduce_amaxPK19rocblas_complex_numIfE21rocblas_index_value_tIfEEviiT2_liliPT3_.num_vgpr, 14
	.set _ZL32rocblas_iamax_iamin_kernel_part1ILi1024E23rocblas_fetch_amax_aminIfE19rocblas_reduce_amaxPK19rocblas_complex_numIfE21rocblas_index_value_tIfEEviiT2_liliPT3_.num_agpr, 0
	.set _ZL32rocblas_iamax_iamin_kernel_part1ILi1024E23rocblas_fetch_amax_aminIfE19rocblas_reduce_amaxPK19rocblas_complex_numIfE21rocblas_index_value_tIfEEviiT2_liliPT3_.numbered_sgpr, 16
	.set _ZL32rocblas_iamax_iamin_kernel_part1ILi1024E23rocblas_fetch_amax_aminIfE19rocblas_reduce_amaxPK19rocblas_complex_numIfE21rocblas_index_value_tIfEEviiT2_liliPT3_.num_named_barrier, 0
	.set _ZL32rocblas_iamax_iamin_kernel_part1ILi1024E23rocblas_fetch_amax_aminIfE19rocblas_reduce_amaxPK19rocblas_complex_numIfE21rocblas_index_value_tIfEEviiT2_liliPT3_.private_seg_size, 0
	.set _ZL32rocblas_iamax_iamin_kernel_part1ILi1024E23rocblas_fetch_amax_aminIfE19rocblas_reduce_amaxPK19rocblas_complex_numIfE21rocblas_index_value_tIfEEviiT2_liliPT3_.uses_vcc, 1
	.set _ZL32rocblas_iamax_iamin_kernel_part1ILi1024E23rocblas_fetch_amax_aminIfE19rocblas_reduce_amaxPK19rocblas_complex_numIfE21rocblas_index_value_tIfEEviiT2_liliPT3_.uses_flat_scratch, 0
	.set _ZL32rocblas_iamax_iamin_kernel_part1ILi1024E23rocblas_fetch_amax_aminIfE19rocblas_reduce_amaxPK19rocblas_complex_numIfE21rocblas_index_value_tIfEEviiT2_liliPT3_.has_dyn_sized_stack, 0
	.set _ZL32rocblas_iamax_iamin_kernel_part1ILi1024E23rocblas_fetch_amax_aminIfE19rocblas_reduce_amaxPK19rocblas_complex_numIfE21rocblas_index_value_tIfEEviiT2_liliPT3_.has_recursion, 0
	.set _ZL32rocblas_iamax_iamin_kernel_part1ILi1024E23rocblas_fetch_amax_aminIfE19rocblas_reduce_amaxPK19rocblas_complex_numIfE21rocblas_index_value_tIfEEviiT2_liliPT3_.has_indirect_call, 0
	.section	.AMDGPU.csdata,"",@progbits
; Kernel info:
; codeLenInByte = 1584
; TotalNumSgprs: 20
; NumVgprs: 14
; ScratchSize: 0
; MemoryBound: 0
; FloatMode: 240
; IeeeMode: 1
; LDSByteSize: 512 bytes/workgroup (compile time only)
; SGPRBlocks: 2
; VGPRBlocks: 3
; NumSGPRsForWavesPerEU: 20
; NumVGPRsForWavesPerEU: 14
; Occupancy: 10
; WaveLimiterHint : 0
; COMPUTE_PGM_RSRC2:SCRATCH_EN: 0
; COMPUTE_PGM_RSRC2:USER_SGPR: 6
; COMPUTE_PGM_RSRC2:TRAP_HANDLER: 0
; COMPUTE_PGM_RSRC2:TGID_X_EN: 1
; COMPUTE_PGM_RSRC2:TGID_Y_EN: 0
; COMPUTE_PGM_RSRC2:TGID_Z_EN: 1
; COMPUTE_PGM_RSRC2:TIDIG_COMP_CNT: 0
	.section	.text._ZL32rocblas_iamax_iamin_kernel_part1ILi1024E23rocblas_fetch_amax_aminIdE19rocblas_reduce_amaxPK19rocblas_complex_numIdE21rocblas_index_value_tIdEEviiT2_liliPT3_,"axG",@progbits,_ZL32rocblas_iamax_iamin_kernel_part1ILi1024E23rocblas_fetch_amax_aminIdE19rocblas_reduce_amaxPK19rocblas_complex_numIdE21rocblas_index_value_tIdEEviiT2_liliPT3_,comdat
	.globl	_ZL32rocblas_iamax_iamin_kernel_part1ILi1024E23rocblas_fetch_amax_aminIdE19rocblas_reduce_amaxPK19rocblas_complex_numIdE21rocblas_index_value_tIdEEviiT2_liliPT3_ ; -- Begin function _ZL32rocblas_iamax_iamin_kernel_part1ILi1024E23rocblas_fetch_amax_aminIdE19rocblas_reduce_amaxPK19rocblas_complex_numIdE21rocblas_index_value_tIdEEviiT2_liliPT3_
	.p2align	8
	.type	_ZL32rocblas_iamax_iamin_kernel_part1ILi1024E23rocblas_fetch_amax_aminIdE19rocblas_reduce_amaxPK19rocblas_complex_numIdE21rocblas_index_value_tIdEEviiT2_liliPT3_,@function
_ZL32rocblas_iamax_iamin_kernel_part1ILi1024E23rocblas_fetch_amax_aminIdE19rocblas_reduce_amaxPK19rocblas_complex_numIdE21rocblas_index_value_tIdEEviiT2_liliPT3_: ; @_ZL32rocblas_iamax_iamin_kernel_part1ILi1024E23rocblas_fetch_amax_aminIdE19rocblas_reduce_amaxPK19rocblas_complex_numIdE21rocblas_index_value_tIdEEviiT2_liliPT3_
; %bb.0:
	s_load_dwordx2 s[10:11], s[4:5], 0x0
	v_lshl_or_b32 v1, s6, 10, v0
	v_mov_b32_e32 v2, 0
                                        ; implicit-def: $vgpr3_vgpr4
	s_waitcnt lgkmcnt(0)
	s_ashr_i32 s1, s10, 31
	s_mov_b32 s0, s10
	v_cmp_gt_i64_e32 vcc, s[0:1], v[1:2]
	s_and_saveexec_b64 s[0:1], vcc
	s_cbranch_execz .LBB5_2
; %bb.1:
	s_load_dword s8, s[4:5], 0x18
	s_load_dwordx2 s[2:3], s[4:5], 0x20
	s_load_dwordx4 s[12:15], s[4:5], 0x8
	s_waitcnt lgkmcnt(0)
	s_ashr_i32 s10, s8, 31
	s_mul_i32 s3, s3, s7
	s_mul_hi_u32 s9, s2, s7
	s_add_i32 s3, s9, s3
	v_mad_u64_u32 v[2:3], s[8:9], s8, v1, 0
	s_mul_i32 s2, s2, s7
	s_lshl_b64 s[2:3], s[2:3], 4
	s_add_u32 s8, s12, s2
	s_addc_u32 s9, s13, s3
	v_mad_u64_u32 v[3:4], s[2:3], s10, v1, v[3:4]
	s_lshl_b64 s[2:3], s[14:15], 4
	s_add_u32 s2, s8, s2
	v_lshlrev_b64 v[2:3], 4, v[2:3]
	s_addc_u32 s3, s9, s3
	v_mov_b32_e32 v4, s3
	v_add_co_u32_e32 v2, vcc, s2, v2
	v_addc_co_u32_e32 v3, vcc, v4, v3, vcc
	global_load_dwordx4 v[2:5], v[2:3], off
	s_waitcnt vmcnt(0)
	v_cmp_gt_f64_e32 vcc, 0, v[2:3]
	v_xor_b32_e32 v6, 0x80000000, v3
	v_xor_b32_e32 v7, 0x80000000, v5
	v_cndmask_b32_e32 v3, v3, v6, vcc
	v_cmp_gt_f64_e32 vcc, 0, v[4:5]
	v_cndmask_b32_e32 v5, v5, v7, vcc
	v_add_f64 v[3:4], v[2:3], v[4:5]
	v_add_u32_e32 v2, 1, v1
.LBB5_2:
	s_or_b64 exec, exec, s[0:1]
	v_and_b32_e32 v1, 63, v0
	v_cmp_gt_u32_e32 vcc, 64, v0
	v_lshlrev_b32_e32 v11, 4, v1
	s_and_saveexec_b64 s[0:1], vcc
	s_cbranch_execz .LBB5_4
; %bb.3:
	v_mov_b32_e32 v5, 0
	v_mov_b32_e32 v6, v5
	ds_write_b32 v11, v5
	ds_write_b64 v11, v[5:6] offset:8
.LBB5_4:
	s_or_b64 exec, exec, s[0:1]
	v_mbcnt_lo_u32_b32 v5, -1, 0
	v_mbcnt_hi_u32_b32 v12, -1, v5
	v_mov_b32_e32 v5, 0x80
	v_lshl_or_b32 v5, v12, 2, v5
	ds_bpermute_b32 v9, v5, v2
	ds_bpermute_b32 v7, v5, v3
	;; [unrolled: 1-line block ×3, first 2 shown]
	v_mov_b32_e32 v6, v4
	v_mov_b32_e32 v5, v3
	s_waitcnt lgkmcnt(2)
	v_cmp_ne_u32_e64 s[0:1], 0, v9
	s_waitcnt lgkmcnt(0)
	s_barrier
	s_and_saveexec_b64 s[8:9], s[0:1]
	s_cbranch_execz .LBB5_8
; %bb.5:
	v_cmp_nlt_f64_e64 s[0:1], v[3:4], v[7:8]
	v_cmp_ne_u32_e64 s[2:3], 0, v2
	v_mov_b32_e32 v5, v7
	v_mov_b32_e32 v6, v8
	s_and_b64 s[0:1], s[2:3], s[0:1]
	s_and_saveexec_b64 s[2:3], s[0:1]
	s_cbranch_execz .LBB5_7
; %bb.6:
	v_cmp_eq_f64_e64 s[0:1], v[3:4], v[7:8]
	v_min_i32_e32 v5, v9, v2
	v_mov_b32_e32 v7, v3
	v_mov_b32_e32 v8, v4
	v_cndmask_b32_e64 v9, v2, v5, s[0:1]
	v_mov_b32_e32 v6, v4
	v_mov_b32_e32 v5, v3
.LBB5_7:
	s_or_b64 exec, exec, s[2:3]
	v_mov_b32_e32 v4, v8
	v_mov_b32_e32 v3, v7
	;; [unrolled: 1-line block ×3, first 2 shown]
.LBB5_8:
	s_or_b64 exec, exec, s[8:9]
	v_and_b32_e32 v16, 63, v12
	v_cmp_gt_u32_e64 s[0:1], 48, v16
	v_cndmask_b32_e64 v7, 0, 16, s[0:1]
	v_add_lshl_u32 v8, v7, v12, 2
	ds_bpermute_b32 v13, v8, v2
	ds_bpermute_b32 v7, v8, v3
	;; [unrolled: 1-line block ×3, first 2 shown]
	s_waitcnt lgkmcnt(2)
	v_cmp_ne_u32_e64 s[0:1], 0, v13
	s_and_saveexec_b64 s[8:9], s[0:1]
	s_cbranch_execz .LBB5_12
; %bb.9:
	s_waitcnt lgkmcnt(0)
	v_cmp_nlt_f64_e64 s[0:1], v[5:6], v[7:8]
	v_cmp_ne_u32_e64 s[2:3], 0, v2
	v_mov_b32_e32 v10, v8
	v_mov_b32_e32 v9, v7
	s_and_b64 s[0:1], s[2:3], s[0:1]
	s_and_saveexec_b64 s[2:3], s[0:1]
	s_cbranch_execz .LBB5_11
; %bb.10:
	v_cmp_eq_f64_e64 s[0:1], v[5:6], v[7:8]
	v_min_i32_e32 v9, v13, v2
	v_mov_b32_e32 v7, v3
	v_mov_b32_e32 v8, v4
	v_cndmask_b32_e64 v13, v2, v9, s[0:1]
	v_mov_b32_e32 v10, v6
	v_mov_b32_e32 v9, v5
.LBB5_11:
	s_or_b64 exec, exec, s[2:3]
	v_mov_b32_e32 v5, v9
	v_mov_b32_e32 v4, v8
	v_mov_b32_e32 v3, v7
	v_mov_b32_e32 v2, v13
	v_mov_b32_e32 v6, v10
.LBB5_12:
	s_or_b64 exec, exec, s[8:9]
	v_cmp_gt_u32_e64 s[0:1], 56, v16
	s_waitcnt lgkmcnt(1)
	v_cndmask_b32_e64 v7, 0, 8, s[0:1]
	v_add_lshl_u32 v13, v7, v12, 2
	ds_bpermute_b32 v14, v13, v2
	ds_bpermute_b32 v7, v13, v3
	s_waitcnt lgkmcnt(2)
	ds_bpermute_b32 v8, v13, v4
	s_waitcnt lgkmcnt(2)
	v_cmp_ne_u32_e64 s[0:1], 0, v14
	s_and_saveexec_b64 s[8:9], s[0:1]
	s_cbranch_execz .LBB5_16
; %bb.13:
	s_waitcnt lgkmcnt(0)
	v_cmp_nlt_f64_e64 s[0:1], v[5:6], v[7:8]
	v_cmp_ne_u32_e64 s[2:3], 0, v2
	v_mov_b32_e32 v10, v8
	v_mov_b32_e32 v9, v7
	s_and_b64 s[0:1], s[2:3], s[0:1]
	s_and_saveexec_b64 s[2:3], s[0:1]
	s_cbranch_execz .LBB5_15
; %bb.14:
	v_cmp_eq_f64_e64 s[0:1], v[5:6], v[7:8]
	v_min_i32_e32 v9, v14, v2
	v_mov_b32_e32 v7, v3
	v_mov_b32_e32 v8, v4
	v_cndmask_b32_e64 v14, v2, v9, s[0:1]
	v_mov_b32_e32 v10, v6
	v_mov_b32_e32 v9, v5
.LBB5_15:
	s_or_b64 exec, exec, s[2:3]
	v_mov_b32_e32 v5, v9
	v_mov_b32_e32 v4, v8
	v_mov_b32_e32 v3, v7
	v_mov_b32_e32 v2, v14
	v_mov_b32_e32 v6, v10
.LBB5_16:
	s_or_b64 exec, exec, s[8:9]
	v_cmp_gt_u32_e64 s[0:1], 60, v16
	s_waitcnt lgkmcnt(1)
	v_cndmask_b32_e64 v7, 0, 4, s[0:1]
	v_add_lshl_u32 v14, v7, v12, 2
	ds_bpermute_b32 v15, v14, v2
	ds_bpermute_b32 v7, v14, v3
	s_waitcnt lgkmcnt(2)
	ds_bpermute_b32 v8, v14, v4
	;; [unrolled: 38-line block ×3, first 2 shown]
	s_waitcnt lgkmcnt(2)
	v_cmp_ne_u32_e64 s[0:1], 0, v17
	s_and_saveexec_b64 s[8:9], s[0:1]
	s_cbranch_execz .LBB5_24
; %bb.21:
	s_waitcnt lgkmcnt(0)
	v_cmp_nlt_f64_e64 s[0:1], v[5:6], v[7:8]
	v_cmp_ne_u32_e64 s[2:3], 0, v2
	v_mov_b32_e32 v10, v8
	v_mov_b32_e32 v9, v7
	s_and_b64 s[0:1], s[2:3], s[0:1]
	s_and_saveexec_b64 s[2:3], s[0:1]
	s_cbranch_execz .LBB5_23
; %bb.22:
	v_cmp_eq_f64_e64 s[0:1], v[5:6], v[7:8]
	v_min_i32_e32 v9, v17, v2
	v_mov_b32_e32 v7, v3
	v_mov_b32_e32 v8, v4
	v_cndmask_b32_e64 v17, v2, v9, s[0:1]
	v_mov_b32_e32 v10, v6
	v_mov_b32_e32 v9, v5
.LBB5_23:
	s_or_b64 exec, exec, s[2:3]
	v_mov_b32_e32 v5, v9
	v_mov_b32_e32 v4, v8
	;; [unrolled: 1-line block ×5, first 2 shown]
.LBB5_24:
	s_or_b64 exec, exec, s[8:9]
	v_cmp_ne_u32_e64 s[0:1], 63, v16
	s_waitcnt lgkmcnt(1)
	v_addc_co_u32_e64 v7, s[0:1], 0, v12, s[0:1]
	v_lshlrev_b32_e32 v9, 2, v7
	ds_bpermute_b32 v7, v9, v2
	ds_bpermute_b32 v3, v9, v3
	;; [unrolled: 1-line block ×3, first 2 shown]
	s_waitcnt lgkmcnt(2)
	v_cmp_ne_u32_e64 s[0:1], 0, v7
	s_and_saveexec_b64 s[12:13], s[0:1]
	s_cbranch_execz .LBB5_26
; %bb.25:
	s_waitcnt lgkmcnt(0)
	v_cmp_lt_f64_e64 s[0:1], v[5:6], v[3:4]
	v_cmp_eq_f64_e64 s[8:9], v[5:6], v[3:4]
	v_cmp_eq_u32_e64 s[2:3], 0, v2
	v_min_i32_e32 v8, v7, v2
	s_or_b64 s[0:1], s[2:3], s[0:1]
	v_cndmask_b32_e64 v2, v2, v8, s[8:9]
	v_cndmask_b32_e64 v2, v2, v7, s[0:1]
	;; [unrolled: 1-line block ×4, first 2 shown]
.LBB5_26:
	s_or_b64 exec, exec, s[12:13]
	v_cmp_eq_u32_e64 s[0:1], 0, v1
	s_and_saveexec_b64 s[2:3], s[0:1]
	s_cbranch_execz .LBB5_28
; %bb.27:
	v_lshrrev_b32_e32 v1, 2, v0
	v_and_b32_e32 v1, 0xf0, v1
	ds_write_b32 v1, v2
	ds_write_b64 v1, v[5:6] offset:8
.LBB5_28:
	s_or_b64 exec, exec, s[2:3]
	v_mov_b32_e32 v1, 0
	v_cmp_gt_u32_e64 s[0:1], 16, v0
	v_mov_b32_e32 v2, 0
	v_mov_b32_e32 v10, 0
	s_waitcnt lgkmcnt(0)
	s_barrier
	s_and_saveexec_b64 s[2:3], s[0:1]
	s_cbranch_execz .LBB5_30
; %bb.29:
	ds_read_b32 v10, v11
	ds_read_b64 v[1:2], v11 offset:8
.LBB5_30:
	s_or_b64 exec, exec, s[2:3]
	s_and_saveexec_b64 s[8:9], vcc
	s_cbranch_execz .LBB5_46
; %bb.31:
	s_waitcnt lgkmcnt(1)
	ds_bpermute_b32 v7, v13, v10
	s_waitcnt lgkmcnt(1)
	ds_bpermute_b32 v5, v13, v1
	ds_bpermute_b32 v6, v13, v2
	v_mov_b32_e32 v4, v2
	v_mov_b32_e32 v3, v1
	s_waitcnt lgkmcnt(2)
	v_cmp_ne_u32_e32 vcc, 0, v7
	s_and_saveexec_b64 s[2:3], vcc
	s_cbranch_execz .LBB5_35
; %bb.32:
	s_waitcnt lgkmcnt(0)
	v_cmp_nlt_f64_e32 vcc, v[1:2], v[5:6]
	v_cmp_ne_u32_e64 s[0:1], 0, v10
	v_mov_b32_e32 v3, v5
	v_mov_b32_e32 v4, v6
	s_and_b64 s[12:13], s[0:1], vcc
	s_and_saveexec_b64 s[0:1], s[12:13]
	s_cbranch_execz .LBB5_34
; %bb.33:
	v_cmp_eq_f64_e32 vcc, v[1:2], v[5:6]
	v_min_i32_e32 v3, v7, v10
	v_mov_b32_e32 v5, v1
	v_mov_b32_e32 v6, v2
	v_cndmask_b32_e32 v7, v10, v3, vcc
	v_mov_b32_e32 v4, v2
	v_mov_b32_e32 v3, v1
.LBB5_34:
	s_or_b64 exec, exec, s[0:1]
	v_mov_b32_e32 v2, v6
	v_mov_b32_e32 v1, v5
	;; [unrolled: 1-line block ×3, first 2 shown]
.LBB5_35:
	s_or_b64 exec, exec, s[2:3]
	ds_bpermute_b32 v11, v14, v10
	s_waitcnt lgkmcnt(2)
	ds_bpermute_b32 v5, v14, v1
	s_waitcnt lgkmcnt(2)
	;; [unrolled: 2-line block ×3, first 2 shown]
	v_cmp_ne_u32_e32 vcc, 0, v11
	s_and_saveexec_b64 s[2:3], vcc
	s_cbranch_execz .LBB5_39
; %bb.36:
	s_waitcnt lgkmcnt(0)
	v_cmp_nlt_f64_e32 vcc, v[3:4], v[5:6]
	v_cmp_ne_u32_e64 s[0:1], 0, v10
	v_mov_b32_e32 v8, v6
	v_mov_b32_e32 v7, v5
	s_and_b64 s[12:13], s[0:1], vcc
	s_and_saveexec_b64 s[0:1], s[12:13]
	s_cbranch_execz .LBB5_38
; %bb.37:
	v_cmp_eq_f64_e32 vcc, v[3:4], v[5:6]
	v_min_i32_e32 v7, v11, v10
	v_mov_b32_e32 v5, v1
	v_mov_b32_e32 v6, v2
	v_cndmask_b32_e32 v11, v10, v7, vcc
	v_mov_b32_e32 v8, v4
	v_mov_b32_e32 v7, v3
.LBB5_38:
	s_or_b64 exec, exec, s[0:1]
	v_mov_b32_e32 v3, v7
	v_mov_b32_e32 v2, v6
	;; [unrolled: 1-line block ×5, first 2 shown]
.LBB5_39:
	s_or_b64 exec, exec, s[2:3]
	ds_bpermute_b32 v11, v15, v10
	s_waitcnt lgkmcnt(2)
	ds_bpermute_b32 v5, v15, v1
	s_waitcnt lgkmcnt(2)
	;; [unrolled: 2-line block ×3, first 2 shown]
	v_cmp_ne_u32_e32 vcc, 0, v11
	s_and_saveexec_b64 s[2:3], vcc
	s_cbranch_execz .LBB5_43
; %bb.40:
	s_waitcnt lgkmcnt(0)
	v_cmp_nlt_f64_e32 vcc, v[3:4], v[5:6]
	v_cmp_ne_u32_e64 s[0:1], 0, v10
	v_mov_b32_e32 v8, v6
	v_mov_b32_e32 v7, v5
	s_and_b64 s[12:13], s[0:1], vcc
	s_and_saveexec_b64 s[0:1], s[12:13]
	s_cbranch_execz .LBB5_42
; %bb.41:
	v_cmp_eq_f64_e32 vcc, v[3:4], v[5:6]
	v_min_i32_e32 v7, v11, v10
	v_mov_b32_e32 v5, v1
	v_mov_b32_e32 v6, v2
	v_cndmask_b32_e32 v11, v10, v7, vcc
	v_mov_b32_e32 v8, v4
	v_mov_b32_e32 v7, v3
.LBB5_42:
	s_or_b64 exec, exec, s[0:1]
	v_mov_b32_e32 v3, v7
	v_mov_b32_e32 v2, v6
	;; [unrolled: 1-line block ×5, first 2 shown]
.LBB5_43:
	s_or_b64 exec, exec, s[2:3]
	s_waitcnt lgkmcnt(1)
	ds_bpermute_b32 v5, v9, v10
	ds_bpermute_b32 v1, v9, v1
	;; [unrolled: 1-line block ×3, first 2 shown]
	s_waitcnt lgkmcnt(2)
	v_cmp_ne_u32_e32 vcc, 0, v5
	s_and_saveexec_b64 s[12:13], vcc
	s_cbranch_execz .LBB5_45
; %bb.44:
	s_waitcnt lgkmcnt(0)
	v_cmp_lt_f64_e32 vcc, v[3:4], v[1:2]
	v_cmp_eq_f64_e64 s[2:3], v[3:4], v[1:2]
	v_cmp_eq_u32_e64 s[0:1], 0, v10
	v_min_i32_e32 v6, v5, v10
	s_or_b64 vcc, s[0:1], vcc
	v_cndmask_b32_e64 v6, v10, v6, s[2:3]
	v_cndmask_b32_e32 v10, v6, v5, vcc
	v_cndmask_b32_e32 v4, v4, v2, vcc
	;; [unrolled: 1-line block ×3, first 2 shown]
.LBB5_45:
	s_or_b64 exec, exec, s[12:13]
	s_waitcnt lgkmcnt(0)
	v_mov_b32_e32 v1, v3
	v_mov_b32_e32 v2, v4
.LBB5_46:
	s_or_b64 exec, exec, s[8:9]
	s_mov_b32 s1, 0
	v_cmp_eq_u32_e32 vcc, 0, v0
	s_and_saveexec_b64 s[2:3], vcc
	s_cbranch_execz .LBB5_48
; %bb.47:
	s_load_dwordx2 s[2:3], s[4:5], 0x30
	s_mul_i32 s0, s11, s7
	s_add_i32 s0, s0, s6
	s_lshl_b64 s[0:1], s[0:1], 4
	v_mov_b32_e32 v0, 0
	s_waitcnt lgkmcnt(0)
	s_add_u32 s0, s2, s0
	s_addc_u32 s1, s3, s1
	global_store_dword v0, v10, s[0:1]
	global_store_dwordx2 v0, v[1:2], s[0:1] offset:8
.LBB5_48:
	s_endpgm
	.section	.rodata,"a",@progbits
	.p2align	6, 0x0
	.amdhsa_kernel _ZL32rocblas_iamax_iamin_kernel_part1ILi1024E23rocblas_fetch_amax_aminIdE19rocblas_reduce_amaxPK19rocblas_complex_numIdE21rocblas_index_value_tIdEEviiT2_liliPT3_
		.amdhsa_group_segment_fixed_size 1024
		.amdhsa_private_segment_fixed_size 0
		.amdhsa_kernarg_size 56
		.amdhsa_user_sgpr_count 6
		.amdhsa_user_sgpr_private_segment_buffer 1
		.amdhsa_user_sgpr_dispatch_ptr 0
		.amdhsa_user_sgpr_queue_ptr 0
		.amdhsa_user_sgpr_kernarg_segment_ptr 1
		.amdhsa_user_sgpr_dispatch_id 0
		.amdhsa_user_sgpr_flat_scratch_init 0
		.amdhsa_user_sgpr_private_segment_size 0
		.amdhsa_uses_dynamic_stack 0
		.amdhsa_system_sgpr_private_segment_wavefront_offset 0
		.amdhsa_system_sgpr_workgroup_id_x 1
		.amdhsa_system_sgpr_workgroup_id_y 0
		.amdhsa_system_sgpr_workgroup_id_z 1
		.amdhsa_system_sgpr_workgroup_info 0
		.amdhsa_system_vgpr_workitem_id 0
		.amdhsa_next_free_vgpr 18
		.amdhsa_next_free_sgpr 16
		.amdhsa_reserve_vcc 1
		.amdhsa_reserve_flat_scratch 0
		.amdhsa_float_round_mode_32 0
		.amdhsa_float_round_mode_16_64 0
		.amdhsa_float_denorm_mode_32 3
		.amdhsa_float_denorm_mode_16_64 3
		.amdhsa_dx10_clamp 1
		.amdhsa_ieee_mode 1
		.amdhsa_fp16_overflow 0
		.amdhsa_exception_fp_ieee_invalid_op 0
		.amdhsa_exception_fp_denorm_src 0
		.amdhsa_exception_fp_ieee_div_zero 0
		.amdhsa_exception_fp_ieee_overflow 0
		.amdhsa_exception_fp_ieee_underflow 0
		.amdhsa_exception_fp_ieee_inexact 0
		.amdhsa_exception_int_div_zero 0
	.end_amdhsa_kernel
	.section	.text._ZL32rocblas_iamax_iamin_kernel_part1ILi1024E23rocblas_fetch_amax_aminIdE19rocblas_reduce_amaxPK19rocblas_complex_numIdE21rocblas_index_value_tIdEEviiT2_liliPT3_,"axG",@progbits,_ZL32rocblas_iamax_iamin_kernel_part1ILi1024E23rocblas_fetch_amax_aminIdE19rocblas_reduce_amaxPK19rocblas_complex_numIdE21rocblas_index_value_tIdEEviiT2_liliPT3_,comdat
.Lfunc_end5:
	.size	_ZL32rocblas_iamax_iamin_kernel_part1ILi1024E23rocblas_fetch_amax_aminIdE19rocblas_reduce_amaxPK19rocblas_complex_numIdE21rocblas_index_value_tIdEEviiT2_liliPT3_, .Lfunc_end5-_ZL32rocblas_iamax_iamin_kernel_part1ILi1024E23rocblas_fetch_amax_aminIdE19rocblas_reduce_amaxPK19rocblas_complex_numIdE21rocblas_index_value_tIdEEviiT2_liliPT3_
                                        ; -- End function
	.set _ZL32rocblas_iamax_iamin_kernel_part1ILi1024E23rocblas_fetch_amax_aminIdE19rocblas_reduce_amaxPK19rocblas_complex_numIdE21rocblas_index_value_tIdEEviiT2_liliPT3_.num_vgpr, 18
	.set _ZL32rocblas_iamax_iamin_kernel_part1ILi1024E23rocblas_fetch_amax_aminIdE19rocblas_reduce_amaxPK19rocblas_complex_numIdE21rocblas_index_value_tIdEEviiT2_liliPT3_.num_agpr, 0
	.set _ZL32rocblas_iamax_iamin_kernel_part1ILi1024E23rocblas_fetch_amax_aminIdE19rocblas_reduce_amaxPK19rocblas_complex_numIdE21rocblas_index_value_tIdEEviiT2_liliPT3_.numbered_sgpr, 16
	.set _ZL32rocblas_iamax_iamin_kernel_part1ILi1024E23rocblas_fetch_amax_aminIdE19rocblas_reduce_amaxPK19rocblas_complex_numIdE21rocblas_index_value_tIdEEviiT2_liliPT3_.num_named_barrier, 0
	.set _ZL32rocblas_iamax_iamin_kernel_part1ILi1024E23rocblas_fetch_amax_aminIdE19rocblas_reduce_amaxPK19rocblas_complex_numIdE21rocblas_index_value_tIdEEviiT2_liliPT3_.private_seg_size, 0
	.set _ZL32rocblas_iamax_iamin_kernel_part1ILi1024E23rocblas_fetch_amax_aminIdE19rocblas_reduce_amaxPK19rocblas_complex_numIdE21rocblas_index_value_tIdEEviiT2_liliPT3_.uses_vcc, 1
	.set _ZL32rocblas_iamax_iamin_kernel_part1ILi1024E23rocblas_fetch_amax_aminIdE19rocblas_reduce_amaxPK19rocblas_complex_numIdE21rocblas_index_value_tIdEEviiT2_liliPT3_.uses_flat_scratch, 0
	.set _ZL32rocblas_iamax_iamin_kernel_part1ILi1024E23rocblas_fetch_amax_aminIdE19rocblas_reduce_amaxPK19rocblas_complex_numIdE21rocblas_index_value_tIdEEviiT2_liliPT3_.has_dyn_sized_stack, 0
	.set _ZL32rocblas_iamax_iamin_kernel_part1ILi1024E23rocblas_fetch_amax_aminIdE19rocblas_reduce_amaxPK19rocblas_complex_numIdE21rocblas_index_value_tIdEEviiT2_liliPT3_.has_recursion, 0
	.set _ZL32rocblas_iamax_iamin_kernel_part1ILi1024E23rocblas_fetch_amax_aminIdE19rocblas_reduce_amaxPK19rocblas_complex_numIdE21rocblas_index_value_tIdEEviiT2_liliPT3_.has_indirect_call, 0
	.section	.AMDGPU.csdata,"",@progbits
; Kernel info:
; codeLenInByte = 2020
; TotalNumSgprs: 20
; NumVgprs: 18
; ScratchSize: 0
; MemoryBound: 0
; FloatMode: 240
; IeeeMode: 1
; LDSByteSize: 1024 bytes/workgroup (compile time only)
; SGPRBlocks: 2
; VGPRBlocks: 4
; NumSGPRsForWavesPerEU: 20
; NumVGPRsForWavesPerEU: 18
; Occupancy: 10
; WaveLimiterHint : 0
; COMPUTE_PGM_RSRC2:SCRATCH_EN: 0
; COMPUTE_PGM_RSRC2:USER_SGPR: 6
; COMPUTE_PGM_RSRC2:TRAP_HANDLER: 0
; COMPUTE_PGM_RSRC2:TGID_X_EN: 1
; COMPUTE_PGM_RSRC2:TGID_Y_EN: 0
; COMPUTE_PGM_RSRC2:TGID_Z_EN: 1
; COMPUTE_PGM_RSRC2:TIDIG_COMP_CNT: 0
	.section	.text._ZL32rocblas_iamax_iamin_kernel_part1ILi1024E23rocblas_fetch_amax_aminIfE19rocblas_reduce_amaxPKPKf21rocblas_index_value_tIfEEviiT2_liliPT3_,"axG",@progbits,_ZL32rocblas_iamax_iamin_kernel_part1ILi1024E23rocblas_fetch_amax_aminIfE19rocblas_reduce_amaxPKPKf21rocblas_index_value_tIfEEviiT2_liliPT3_,comdat
	.globl	_ZL32rocblas_iamax_iamin_kernel_part1ILi1024E23rocblas_fetch_amax_aminIfE19rocblas_reduce_amaxPKPKf21rocblas_index_value_tIfEEviiT2_liliPT3_ ; -- Begin function _ZL32rocblas_iamax_iamin_kernel_part1ILi1024E23rocblas_fetch_amax_aminIfE19rocblas_reduce_amaxPKPKf21rocblas_index_value_tIfEEviiT2_liliPT3_
	.p2align	8
	.type	_ZL32rocblas_iamax_iamin_kernel_part1ILi1024E23rocblas_fetch_amax_aminIfE19rocblas_reduce_amaxPKPKf21rocblas_index_value_tIfEEviiT2_liliPT3_,@function
_ZL32rocblas_iamax_iamin_kernel_part1ILi1024E23rocblas_fetch_amax_aminIfE19rocblas_reduce_amaxPKPKf21rocblas_index_value_tIfEEviiT2_liliPT3_: ; @_ZL32rocblas_iamax_iamin_kernel_part1ILi1024E23rocblas_fetch_amax_aminIfE19rocblas_reduce_amaxPKPKf21rocblas_index_value_tIfEEviiT2_liliPT3_
; %bb.0:
	s_load_dwordx2 s[12:13], s[4:5], 0x0
	v_lshl_or_b32 v1, s6, 10, v0
	v_mov_b32_e32 v2, 0
	s_mov_b32 s10, s7
                                        ; implicit-def: $vgpr3
	s_waitcnt lgkmcnt(0)
	s_ashr_i32 s1, s12, 31
	s_mov_b32 s0, s12
	v_cmp_gt_i64_e32 vcc, s[0:1], v[1:2]
	s_and_saveexec_b64 s[0:1], vcc
	s_cbranch_execz .LBB6_2
; %bb.1:
	s_load_dword s7, s[4:5], 0x18
	s_load_dwordx4 s[16:19], s[4:5], 0x8
	s_mov_b32 s11, 0
	s_lshl_b64 s[2:3], s[10:11], 3
	s_waitcnt lgkmcnt(0)
	s_ashr_i32 s11, s7, 31
	v_mad_u64_u32 v[2:3], s[8:9], s7, v1, 0
	s_add_u32 s2, s16, s2
	s_addc_u32 s3, s17, s3
	s_load_dwordx2 s[2:3], s[2:3], 0x0
	v_mad_u64_u32 v[3:4], s[8:9], s11, v1, v[3:4]
	s_lshl_b64 s[8:9], s[18:19], 2
	s_waitcnt lgkmcnt(0)
	s_add_u32 s2, s2, s8
	v_lshlrev_b64 v[2:3], 2, v[2:3]
	s_addc_u32 s3, s3, s9
	v_mov_b32_e32 v4, s3
	v_add_co_u32_e32 v2, vcc, s2, v2
	v_addc_co_u32_e32 v3, vcc, v4, v3, vcc
	flat_load_dword v3, v[2:3]
	v_add_u32_e32 v2, 1, v1
	s_waitcnt vmcnt(0) lgkmcnt(0)
	v_cmp_gt_f32_e32 vcc, 0, v3
	v_cndmask_b32_e64 v3, v3, -v3, vcc
.LBB6_2:
	s_or_b64 exec, exec, s[0:1]
	v_and_b32_e32 v1, 63, v0
	v_cmp_gt_u32_e32 vcc, 64, v0
	v_lshlrev_b32_e32 v4, 3, v1
	s_and_saveexec_b64 s[0:1], vcc
; %bb.3:
	v_mov_b32_e32 v5, 0
	v_mov_b32_e32 v6, v5
	ds_write_b64 v4, v[5:6]
; %bb.4:
	s_or_b64 exec, exec, s[0:1]
	v_mbcnt_lo_u32_b32 v5, -1, 0
	v_mbcnt_hi_u32_b32 v5, -1, v5
	v_mov_b32_e32 v6, 0x80
	v_lshl_or_b32 v7, v5, 2, v6
	ds_bpermute_b32 v6, v7, v2
	ds_bpermute_b32 v7, v7, v3
	s_waitcnt lgkmcnt(0)
	s_barrier
	v_cmp_ne_u32_e64 s[0:1], 0, v6
	s_and_saveexec_b64 s[14:15], s[0:1]
; %bb.5:
	v_cmp_eq_u32_e64 s[0:1], 0, v2
	v_cmp_lt_f32_e64 s[2:3], v3, v7
	v_min_i32_e32 v8, v6, v2
	v_cmp_eq_f32_e64 s[8:9], v3, v7
	v_cndmask_b32_e64 v2, v2, v8, s[8:9]
	s_or_b64 s[0:1], s[0:1], s[2:3]
	v_cndmask_b32_e64 v2, v2, v6, s[0:1]
	v_cndmask_b32_e64 v3, v3, v7, s[0:1]
; %bb.6:
	s_or_b64 exec, exec, s[14:15]
	v_and_b32_e32 v9, 63, v5
	v_cmp_gt_u32_e64 s[0:1], 48, v9
	v_cndmask_b32_e64 v6, 0, 16, s[0:1]
	v_add_lshl_u32 v7, v6, v5, 2
	ds_bpermute_b32 v6, v7, v2
	ds_bpermute_b32 v7, v7, v3
	v_mov_b32_e32 v10, v3
	s_waitcnt lgkmcnt(1)
	v_cmp_ne_u32_e64 s[0:1], 0, v6
	s_and_saveexec_b64 s[8:9], s[0:1]
	s_cbranch_execz .LBB6_10
; %bb.7:
	v_cmp_ne_u32_e64 s[0:1], 0, v2
	s_waitcnt lgkmcnt(0)
	v_cmp_nlt_f32_e64 s[2:3], v3, v7
	s_and_b64 s[0:1], s[0:1], s[2:3]
	s_and_saveexec_b64 s[2:3], s[0:1]
; %bb.8:
	v_min_i32_e32 v6, v6, v2
	v_cmp_eq_f32_e64 s[0:1], v3, v7
	v_cndmask_b32_e64 v6, v2, v6, s[0:1]
	v_mov_b32_e32 v7, v3
; %bb.9:
	s_or_b64 exec, exec, s[2:3]
	v_mov_b32_e32 v3, v7
	v_mov_b32_e32 v2, v6
	;; [unrolled: 1-line block ×3, first 2 shown]
.LBB6_10:
	s_or_b64 exec, exec, s[8:9]
	v_cmp_gt_u32_e64 s[0:1], 56, v9
	v_cndmask_b32_e64 v6, 0, 8, s[0:1]
	v_add_lshl_u32 v6, v6, v5, 2
	s_waitcnt lgkmcnt(0)
	ds_bpermute_b32 v7, v6, v2
	ds_bpermute_b32 v8, v6, v3
	s_waitcnt lgkmcnt(1)
	v_cmp_ne_u32_e64 s[0:1], 0, v7
	s_and_saveexec_b64 s[8:9], s[0:1]
	s_cbranch_execz .LBB6_14
; %bb.11:
	v_cmp_ne_u32_e64 s[0:1], 0, v2
	s_waitcnt lgkmcnt(0)
	v_cmp_nlt_f32_e64 s[2:3], v10, v8
	s_and_b64 s[0:1], s[0:1], s[2:3]
	v_mov_b32_e32 v11, v8
	s_and_saveexec_b64 s[2:3], s[0:1]
; %bb.12:
	v_min_i32_e32 v7, v7, v2
	v_cmp_eq_f32_e64 s[0:1], v10, v8
	v_cndmask_b32_e64 v7, v2, v7, s[0:1]
	v_mov_b32_e32 v11, v10
	v_mov_b32_e32 v8, v3
; %bb.13:
	s_or_b64 exec, exec, s[2:3]
	v_mov_b32_e32 v3, v8
	v_mov_b32_e32 v2, v7
	v_mov_b32_e32 v10, v11
.LBB6_14:
	s_or_b64 exec, exec, s[8:9]
	v_cmp_gt_u32_e64 s[0:1], 60, v9
	v_cndmask_b32_e64 v7, 0, 4, s[0:1]
	v_add_lshl_u32 v7, v7, v5, 2
	s_waitcnt lgkmcnt(0)
	ds_bpermute_b32 v8, v7, v2
	ds_bpermute_b32 v11, v7, v3
	s_waitcnt lgkmcnt(1)
	v_cmp_ne_u32_e64 s[0:1], 0, v8
	s_and_saveexec_b64 s[8:9], s[0:1]
	s_cbranch_execz .LBB6_18
; %bb.15:
	v_cmp_ne_u32_e64 s[0:1], 0, v2
	s_waitcnt lgkmcnt(0)
	v_cmp_nlt_f32_e64 s[2:3], v10, v11
	s_and_b64 s[0:1], s[0:1], s[2:3]
	v_mov_b32_e32 v12, v11
	s_and_saveexec_b64 s[2:3], s[0:1]
; %bb.16:
	v_min_i32_e32 v8, v8, v2
	v_cmp_eq_f32_e64 s[0:1], v10, v11
	v_cndmask_b32_e64 v8, v2, v8, s[0:1]
	v_mov_b32_e32 v12, v10
	v_mov_b32_e32 v11, v3
; %bb.17:
	s_or_b64 exec, exec, s[2:3]
	v_mov_b32_e32 v3, v11
	v_mov_b32_e32 v2, v8
	v_mov_b32_e32 v10, v12
.LBB6_18:
	;; [unrolled: 30-line block ×3, first 2 shown]
	s_or_b64 exec, exec, s[8:9]
	v_cmp_ne_u32_e64 s[0:1], 63, v9
	v_addc_co_u32_e64 v5, s[0:1], 0, v5, s[0:1]
	v_lshlrev_b32_e32 v5, 2, v5
	ds_bpermute_b32 v9, v5, v2
	ds_bpermute_b32 v11, v5, v3
	s_waitcnt lgkmcnt(1)
	v_cmp_ne_u32_e64 s[0:1], 0, v9
	s_and_saveexec_b64 s[14:15], s[0:1]
	s_cbranch_execz .LBB6_24
; %bb.23:
	v_cmp_eq_u32_e64 s[0:1], 0, v2
	s_waitcnt lgkmcnt(0)
	v_cmp_lt_f32_e64 s[2:3], v10, v11
	v_min_i32_e32 v12, v9, v2
	v_cmp_eq_f32_e64 s[8:9], v10, v11
	v_cndmask_b32_e64 v2, v2, v12, s[8:9]
	s_or_b64 s[0:1], s[0:1], s[2:3]
	v_cndmask_b32_e64 v3, v3, v11, s[0:1]
	v_cndmask_b32_e64 v2, v2, v9, s[0:1]
.LBB6_24:
	s_or_b64 exec, exec, s[14:15]
	v_cmp_eq_u32_e64 s[0:1], 0, v1
	s_and_saveexec_b64 s[2:3], s[0:1]
; %bb.25:
	v_lshrrev_b32_e32 v1, 3, v0
	v_and_b32_e32 v1, 0x78, v1
	ds_write_b64 v1, v[2:3]
; %bb.26:
	s_or_b64 exec, exec, s[2:3]
	v_cmp_gt_u32_e64 s[0:1], 16, v0
	v_mov_b32_e32 v1, 0
	v_mov_b32_e32 v2, 0
	s_waitcnt lgkmcnt(0)
	s_barrier
	s_and_saveexec_b64 s[2:3], s[0:1]
; %bb.27:
	ds_read_b64 v[1:2], v4
; %bb.28:
	s_or_b64 exec, exec, s[2:3]
	s_and_saveexec_b64 s[8:9], vcc
	s_cbranch_execz .LBB6_42
; %bb.29:
	s_waitcnt lgkmcnt(0)
	ds_bpermute_b32 v3, v6, v1
	ds_bpermute_b32 v4, v6, v2
	s_waitcnt lgkmcnt(1)
	v_cmp_ne_u32_e32 vcc, 0, v3
	s_and_saveexec_b64 s[14:15], vcc
	s_cbranch_execz .LBB6_31
; %bb.30:
	v_cmp_eq_u32_e32 vcc, 0, v1
	s_waitcnt lgkmcnt(0)
	v_cmp_lt_f32_e64 s[0:1], v2, v4
	v_min_i32_e32 v6, v3, v1
	v_cmp_eq_f32_e64 s[2:3], v2, v4
	v_cndmask_b32_e64 v1, v1, v6, s[2:3]
	s_or_b64 vcc, vcc, s[0:1]
	v_cndmask_b32_e32 v1, v1, v3, vcc
	v_cndmask_b32_e32 v2, v2, v4, vcc
.LBB6_31:
	s_or_b64 exec, exec, s[14:15]
	s_waitcnt lgkmcnt(0)
	ds_bpermute_b32 v4, v7, v1
	ds_bpermute_b32 v6, v7, v2
	v_mov_b32_e32 v3, v2
	s_waitcnt lgkmcnt(1)
	v_cmp_ne_u32_e32 vcc, 0, v4
	s_and_saveexec_b64 s[2:3], vcc
	s_cbranch_execz .LBB6_35
; %bb.32:
	v_cmp_ne_u32_e32 vcc, 0, v1
	s_waitcnt lgkmcnt(0)
	v_cmp_nlt_f32_e64 s[0:1], v2, v6
	s_and_b64 s[14:15], vcc, s[0:1]
	s_and_saveexec_b64 s[0:1], s[14:15]
; %bb.33:
	v_min_i32_e32 v3, v4, v1
	v_cmp_eq_f32_e32 vcc, v2, v6
	v_cndmask_b32_e32 v4, v1, v3, vcc
	v_mov_b32_e32 v6, v2
; %bb.34:
	s_or_b64 exec, exec, s[0:1]
	v_mov_b32_e32 v2, v6
	v_mov_b32_e32 v1, v4
	;; [unrolled: 1-line block ×3, first 2 shown]
.LBB6_35:
	s_or_b64 exec, exec, s[2:3]
	ds_bpermute_b32 v4, v8, v1
	s_waitcnt lgkmcnt(1)
	ds_bpermute_b32 v6, v8, v2
	s_waitcnt lgkmcnt(1)
	v_cmp_ne_u32_e32 vcc, 0, v4
	s_and_saveexec_b64 s[2:3], vcc
	s_cbranch_execz .LBB6_39
; %bb.36:
	v_cmp_ne_u32_e32 vcc, 0, v1
	s_waitcnt lgkmcnt(0)
	v_cmp_nlt_f32_e64 s[0:1], v3, v6
	s_and_b64 s[14:15], vcc, s[0:1]
	v_mov_b32_e32 v7, v6
	s_and_saveexec_b64 s[0:1], s[14:15]
; %bb.37:
	v_min_i32_e32 v4, v4, v1
	v_cmp_eq_f32_e32 vcc, v3, v6
	v_cndmask_b32_e32 v4, v1, v4, vcc
	v_mov_b32_e32 v7, v3
	v_mov_b32_e32 v6, v2
; %bb.38:
	s_or_b64 exec, exec, s[0:1]
	v_mov_b32_e32 v2, v6
	v_mov_b32_e32 v1, v4
	v_mov_b32_e32 v3, v7
.LBB6_39:
	s_or_b64 exec, exec, s[2:3]
	ds_bpermute_b32 v4, v5, v1
	ds_bpermute_b32 v5, v5, v2
	s_waitcnt lgkmcnt(1)
	v_cmp_ne_u32_e32 vcc, 0, v4
	s_and_saveexec_b64 s[14:15], vcc
	s_cbranch_execz .LBB6_41
; %bb.40:
	v_cmp_eq_u32_e32 vcc, 0, v1
	s_waitcnt lgkmcnt(0)
	v_cmp_lt_f32_e64 s[0:1], v3, v5
	v_min_i32_e32 v6, v4, v1
	v_cmp_eq_f32_e64 s[2:3], v3, v5
	v_cndmask_b32_e64 v1, v1, v6, s[2:3]
	s_or_b64 vcc, vcc, s[0:1]
	v_cndmask_b32_e32 v2, v2, v5, vcc
	v_cndmask_b32_e32 v1, v1, v4, vcc
.LBB6_41:
	s_or_b64 exec, exec, s[14:15]
.LBB6_42:
	s_or_b64 exec, exec, s[8:9]
	s_mov_b32 s1, 0
	v_cmp_eq_u32_e32 vcc, 0, v0
	s_and_saveexec_b64 s[2:3], vcc
	s_cbranch_execz .LBB6_44
; %bb.43:
	s_load_dwordx2 s[2:3], s[4:5], 0x30
	s_mul_i32 s0, s13, s10
	s_add_i32 s0, s0, s6
	s_lshl_b64 s[0:1], s[0:1], 3
	v_mov_b32_e32 v0, 0
	s_waitcnt lgkmcnt(0)
	s_add_u32 s0, s2, s0
	s_addc_u32 s1, s3, s1
	global_store_dwordx2 v0, v[1:2], s[0:1]
.LBB6_44:
	s_endpgm
	.section	.rodata,"a",@progbits
	.p2align	6, 0x0
	.amdhsa_kernel _ZL32rocblas_iamax_iamin_kernel_part1ILi1024E23rocblas_fetch_amax_aminIfE19rocblas_reduce_amaxPKPKf21rocblas_index_value_tIfEEviiT2_liliPT3_
		.amdhsa_group_segment_fixed_size 512
		.amdhsa_private_segment_fixed_size 0
		.amdhsa_kernarg_size 56
		.amdhsa_user_sgpr_count 6
		.amdhsa_user_sgpr_private_segment_buffer 1
		.amdhsa_user_sgpr_dispatch_ptr 0
		.amdhsa_user_sgpr_queue_ptr 0
		.amdhsa_user_sgpr_kernarg_segment_ptr 1
		.amdhsa_user_sgpr_dispatch_id 0
		.amdhsa_user_sgpr_flat_scratch_init 0
		.amdhsa_user_sgpr_private_segment_size 0
		.amdhsa_uses_dynamic_stack 0
		.amdhsa_system_sgpr_private_segment_wavefront_offset 0
		.amdhsa_system_sgpr_workgroup_id_x 1
		.amdhsa_system_sgpr_workgroup_id_y 0
		.amdhsa_system_sgpr_workgroup_id_z 1
		.amdhsa_system_sgpr_workgroup_info 0
		.amdhsa_system_vgpr_workitem_id 0
		.amdhsa_next_free_vgpr 14
		.amdhsa_next_free_sgpr 20
		.amdhsa_reserve_vcc 1
		.amdhsa_reserve_flat_scratch 0
		.amdhsa_float_round_mode_32 0
		.amdhsa_float_round_mode_16_64 0
		.amdhsa_float_denorm_mode_32 3
		.amdhsa_float_denorm_mode_16_64 3
		.amdhsa_dx10_clamp 1
		.amdhsa_ieee_mode 1
		.amdhsa_fp16_overflow 0
		.amdhsa_exception_fp_ieee_invalid_op 0
		.amdhsa_exception_fp_denorm_src 0
		.amdhsa_exception_fp_ieee_div_zero 0
		.amdhsa_exception_fp_ieee_overflow 0
		.amdhsa_exception_fp_ieee_underflow 0
		.amdhsa_exception_fp_ieee_inexact 0
		.amdhsa_exception_int_div_zero 0
	.end_amdhsa_kernel
	.section	.text._ZL32rocblas_iamax_iamin_kernel_part1ILi1024E23rocblas_fetch_amax_aminIfE19rocblas_reduce_amaxPKPKf21rocblas_index_value_tIfEEviiT2_liliPT3_,"axG",@progbits,_ZL32rocblas_iamax_iamin_kernel_part1ILi1024E23rocblas_fetch_amax_aminIfE19rocblas_reduce_amaxPKPKf21rocblas_index_value_tIfEEviiT2_liliPT3_,comdat
.Lfunc_end6:
	.size	_ZL32rocblas_iamax_iamin_kernel_part1ILi1024E23rocblas_fetch_amax_aminIfE19rocblas_reduce_amaxPKPKf21rocblas_index_value_tIfEEviiT2_liliPT3_, .Lfunc_end6-_ZL32rocblas_iamax_iamin_kernel_part1ILi1024E23rocblas_fetch_amax_aminIfE19rocblas_reduce_amaxPKPKf21rocblas_index_value_tIfEEviiT2_liliPT3_
                                        ; -- End function
	.set _ZL32rocblas_iamax_iamin_kernel_part1ILi1024E23rocblas_fetch_amax_aminIfE19rocblas_reduce_amaxPKPKf21rocblas_index_value_tIfEEviiT2_liliPT3_.num_vgpr, 14
	.set _ZL32rocblas_iamax_iamin_kernel_part1ILi1024E23rocblas_fetch_amax_aminIfE19rocblas_reduce_amaxPKPKf21rocblas_index_value_tIfEEviiT2_liliPT3_.num_agpr, 0
	.set _ZL32rocblas_iamax_iamin_kernel_part1ILi1024E23rocblas_fetch_amax_aminIfE19rocblas_reduce_amaxPKPKf21rocblas_index_value_tIfEEviiT2_liliPT3_.numbered_sgpr, 20
	.set _ZL32rocblas_iamax_iamin_kernel_part1ILi1024E23rocblas_fetch_amax_aminIfE19rocblas_reduce_amaxPKPKf21rocblas_index_value_tIfEEviiT2_liliPT3_.num_named_barrier, 0
	.set _ZL32rocblas_iamax_iamin_kernel_part1ILi1024E23rocblas_fetch_amax_aminIfE19rocblas_reduce_amaxPKPKf21rocblas_index_value_tIfEEviiT2_liliPT3_.private_seg_size, 0
	.set _ZL32rocblas_iamax_iamin_kernel_part1ILi1024E23rocblas_fetch_amax_aminIfE19rocblas_reduce_amaxPKPKf21rocblas_index_value_tIfEEviiT2_liliPT3_.uses_vcc, 1
	.set _ZL32rocblas_iamax_iamin_kernel_part1ILi1024E23rocblas_fetch_amax_aminIfE19rocblas_reduce_amaxPKPKf21rocblas_index_value_tIfEEviiT2_liliPT3_.uses_flat_scratch, 0
	.set _ZL32rocblas_iamax_iamin_kernel_part1ILi1024E23rocblas_fetch_amax_aminIfE19rocblas_reduce_amaxPKPKf21rocblas_index_value_tIfEEviiT2_liliPT3_.has_dyn_sized_stack, 0
	.set _ZL32rocblas_iamax_iamin_kernel_part1ILi1024E23rocblas_fetch_amax_aminIfE19rocblas_reduce_amaxPKPKf21rocblas_index_value_tIfEEviiT2_liliPT3_.has_recursion, 0
	.set _ZL32rocblas_iamax_iamin_kernel_part1ILi1024E23rocblas_fetch_amax_aminIfE19rocblas_reduce_amaxPKPKf21rocblas_index_value_tIfEEviiT2_liliPT3_.has_indirect_call, 0
	.section	.AMDGPU.csdata,"",@progbits
; Kernel info:
; codeLenInByte = 1564
; TotalNumSgprs: 24
; NumVgprs: 14
; ScratchSize: 0
; MemoryBound: 0
; FloatMode: 240
; IeeeMode: 1
; LDSByteSize: 512 bytes/workgroup (compile time only)
; SGPRBlocks: 2
; VGPRBlocks: 3
; NumSGPRsForWavesPerEU: 24
; NumVGPRsForWavesPerEU: 14
; Occupancy: 10
; WaveLimiterHint : 1
; COMPUTE_PGM_RSRC2:SCRATCH_EN: 0
; COMPUTE_PGM_RSRC2:USER_SGPR: 6
; COMPUTE_PGM_RSRC2:TRAP_HANDLER: 0
; COMPUTE_PGM_RSRC2:TGID_X_EN: 1
; COMPUTE_PGM_RSRC2:TGID_Y_EN: 0
; COMPUTE_PGM_RSRC2:TGID_Z_EN: 1
; COMPUTE_PGM_RSRC2:TIDIG_COMP_CNT: 0
	.section	.text._ZL32rocblas_iamax_iamin_kernel_part1ILi1024E23rocblas_fetch_amax_aminIdE19rocblas_reduce_amaxPKPKd21rocblas_index_value_tIdEEviiT2_liliPT3_,"axG",@progbits,_ZL32rocblas_iamax_iamin_kernel_part1ILi1024E23rocblas_fetch_amax_aminIdE19rocblas_reduce_amaxPKPKd21rocblas_index_value_tIdEEviiT2_liliPT3_,comdat
	.globl	_ZL32rocblas_iamax_iamin_kernel_part1ILi1024E23rocblas_fetch_amax_aminIdE19rocblas_reduce_amaxPKPKd21rocblas_index_value_tIdEEviiT2_liliPT3_ ; -- Begin function _ZL32rocblas_iamax_iamin_kernel_part1ILi1024E23rocblas_fetch_amax_aminIdE19rocblas_reduce_amaxPKPKd21rocblas_index_value_tIdEEviiT2_liliPT3_
	.p2align	8
	.type	_ZL32rocblas_iamax_iamin_kernel_part1ILi1024E23rocblas_fetch_amax_aminIdE19rocblas_reduce_amaxPKPKd21rocblas_index_value_tIdEEviiT2_liliPT3_,@function
_ZL32rocblas_iamax_iamin_kernel_part1ILi1024E23rocblas_fetch_amax_aminIdE19rocblas_reduce_amaxPKPKd21rocblas_index_value_tIdEEviiT2_liliPT3_: ; @_ZL32rocblas_iamax_iamin_kernel_part1ILi1024E23rocblas_fetch_amax_aminIdE19rocblas_reduce_amaxPKPKd21rocblas_index_value_tIdEEviiT2_liliPT3_
; %bb.0:
	s_load_dwordx2 s[12:13], s[4:5], 0x0
	v_lshl_or_b32 v1, s6, 10, v0
	v_mov_b32_e32 v2, 0
	s_mov_b32 s10, s7
                                        ; implicit-def: $vgpr3_vgpr4
	s_waitcnt lgkmcnt(0)
	s_ashr_i32 s1, s12, 31
	s_mov_b32 s0, s12
	v_cmp_gt_i64_e32 vcc, s[0:1], v[1:2]
	s_and_saveexec_b64 s[0:1], vcc
	s_cbranch_execz .LBB7_2
; %bb.1:
	s_load_dword s7, s[4:5], 0x18
	s_load_dwordx4 s[16:19], s[4:5], 0x8
	s_mov_b32 s11, 0
	s_lshl_b64 s[2:3], s[10:11], 3
	s_waitcnt lgkmcnt(0)
	s_ashr_i32 s11, s7, 31
	v_mad_u64_u32 v[2:3], s[8:9], s7, v1, 0
	s_add_u32 s2, s16, s2
	s_addc_u32 s3, s17, s3
	s_load_dwordx2 s[2:3], s[2:3], 0x0
	v_mad_u64_u32 v[3:4], s[8:9], s11, v1, v[3:4]
	s_lshl_b64 s[8:9], s[18:19], 3
	s_waitcnt lgkmcnt(0)
	s_add_u32 s2, s2, s8
	v_lshlrev_b64 v[2:3], 3, v[2:3]
	s_addc_u32 s3, s3, s9
	v_mov_b32_e32 v4, s3
	v_add_co_u32_e32 v2, vcc, s2, v2
	v_addc_co_u32_e32 v3, vcc, v4, v3, vcc
	flat_load_dwordx2 v[3:4], v[2:3]
	v_add_u32_e32 v2, 1, v1
	s_waitcnt vmcnt(0) lgkmcnt(0)
	v_cmp_gt_f64_e32 vcc, 0, v[3:4]
	v_xor_b32_e32 v1, 0x80000000, v4
	v_cndmask_b32_e32 v4, v4, v1, vcc
.LBB7_2:
	s_or_b64 exec, exec, s[0:1]
	v_and_b32_e32 v1, 63, v0
	v_cmp_gt_u32_e32 vcc, 64, v0
	v_lshlrev_b32_e32 v11, 4, v1
	s_and_saveexec_b64 s[0:1], vcc
	s_cbranch_execz .LBB7_4
; %bb.3:
	v_mov_b32_e32 v5, 0
	v_mov_b32_e32 v6, v5
	ds_write_b32 v11, v5
	ds_write_b64 v11, v[5:6] offset:8
.LBB7_4:
	s_or_b64 exec, exec, s[0:1]
	v_mbcnt_lo_u32_b32 v5, -1, 0
	v_mbcnt_hi_u32_b32 v12, -1, v5
	v_mov_b32_e32 v5, 0x80
	v_lshl_or_b32 v5, v12, 2, v5
	ds_bpermute_b32 v9, v5, v2
	ds_bpermute_b32 v7, v5, v3
	;; [unrolled: 1-line block ×3, first 2 shown]
	v_mov_b32_e32 v6, v4
	v_mov_b32_e32 v5, v3
	s_waitcnt lgkmcnt(2)
	v_cmp_ne_u32_e64 s[0:1], 0, v9
	s_waitcnt lgkmcnt(0)
	s_barrier
	s_and_saveexec_b64 s[8:9], s[0:1]
	s_cbranch_execz .LBB7_8
; %bb.5:
	v_cmp_nlt_f64_e64 s[0:1], v[3:4], v[7:8]
	v_cmp_ne_u32_e64 s[2:3], 0, v2
	v_mov_b32_e32 v5, v7
	v_mov_b32_e32 v6, v8
	s_and_b64 s[0:1], s[2:3], s[0:1]
	s_and_saveexec_b64 s[2:3], s[0:1]
	s_cbranch_execz .LBB7_7
; %bb.6:
	v_cmp_eq_f64_e64 s[0:1], v[3:4], v[7:8]
	v_min_i32_e32 v5, v9, v2
	v_mov_b32_e32 v7, v3
	v_mov_b32_e32 v8, v4
	v_cndmask_b32_e64 v9, v2, v5, s[0:1]
	v_mov_b32_e32 v6, v4
	v_mov_b32_e32 v5, v3
.LBB7_7:
	s_or_b64 exec, exec, s[2:3]
	v_mov_b32_e32 v4, v8
	v_mov_b32_e32 v3, v7
	;; [unrolled: 1-line block ×3, first 2 shown]
.LBB7_8:
	s_or_b64 exec, exec, s[8:9]
	v_and_b32_e32 v16, 63, v12
	v_cmp_gt_u32_e64 s[0:1], 48, v16
	v_cndmask_b32_e64 v7, 0, 16, s[0:1]
	v_add_lshl_u32 v8, v7, v12, 2
	ds_bpermute_b32 v13, v8, v2
	ds_bpermute_b32 v7, v8, v3
	;; [unrolled: 1-line block ×3, first 2 shown]
	s_waitcnt lgkmcnt(2)
	v_cmp_ne_u32_e64 s[0:1], 0, v13
	s_and_saveexec_b64 s[8:9], s[0:1]
	s_cbranch_execz .LBB7_12
; %bb.9:
	s_waitcnt lgkmcnt(0)
	v_cmp_nlt_f64_e64 s[0:1], v[5:6], v[7:8]
	v_cmp_ne_u32_e64 s[2:3], 0, v2
	v_mov_b32_e32 v10, v8
	v_mov_b32_e32 v9, v7
	s_and_b64 s[0:1], s[2:3], s[0:1]
	s_and_saveexec_b64 s[2:3], s[0:1]
	s_cbranch_execz .LBB7_11
; %bb.10:
	v_cmp_eq_f64_e64 s[0:1], v[5:6], v[7:8]
	v_min_i32_e32 v9, v13, v2
	v_mov_b32_e32 v7, v3
	v_mov_b32_e32 v8, v4
	v_cndmask_b32_e64 v13, v2, v9, s[0:1]
	v_mov_b32_e32 v10, v6
	v_mov_b32_e32 v9, v5
.LBB7_11:
	s_or_b64 exec, exec, s[2:3]
	v_mov_b32_e32 v5, v9
	v_mov_b32_e32 v4, v8
	v_mov_b32_e32 v3, v7
	v_mov_b32_e32 v2, v13
	v_mov_b32_e32 v6, v10
.LBB7_12:
	s_or_b64 exec, exec, s[8:9]
	v_cmp_gt_u32_e64 s[0:1], 56, v16
	s_waitcnt lgkmcnt(1)
	v_cndmask_b32_e64 v7, 0, 8, s[0:1]
	v_add_lshl_u32 v13, v7, v12, 2
	ds_bpermute_b32 v14, v13, v2
	ds_bpermute_b32 v7, v13, v3
	s_waitcnt lgkmcnt(2)
	ds_bpermute_b32 v8, v13, v4
	s_waitcnt lgkmcnt(2)
	v_cmp_ne_u32_e64 s[0:1], 0, v14
	s_and_saveexec_b64 s[8:9], s[0:1]
	s_cbranch_execz .LBB7_16
; %bb.13:
	s_waitcnt lgkmcnt(0)
	v_cmp_nlt_f64_e64 s[0:1], v[5:6], v[7:8]
	v_cmp_ne_u32_e64 s[2:3], 0, v2
	v_mov_b32_e32 v10, v8
	v_mov_b32_e32 v9, v7
	s_and_b64 s[0:1], s[2:3], s[0:1]
	s_and_saveexec_b64 s[2:3], s[0:1]
	s_cbranch_execz .LBB7_15
; %bb.14:
	v_cmp_eq_f64_e64 s[0:1], v[5:6], v[7:8]
	v_min_i32_e32 v9, v14, v2
	v_mov_b32_e32 v7, v3
	v_mov_b32_e32 v8, v4
	v_cndmask_b32_e64 v14, v2, v9, s[0:1]
	v_mov_b32_e32 v10, v6
	v_mov_b32_e32 v9, v5
.LBB7_15:
	s_or_b64 exec, exec, s[2:3]
	v_mov_b32_e32 v5, v9
	v_mov_b32_e32 v4, v8
	v_mov_b32_e32 v3, v7
	v_mov_b32_e32 v2, v14
	v_mov_b32_e32 v6, v10
.LBB7_16:
	s_or_b64 exec, exec, s[8:9]
	v_cmp_gt_u32_e64 s[0:1], 60, v16
	s_waitcnt lgkmcnt(1)
	v_cndmask_b32_e64 v7, 0, 4, s[0:1]
	v_add_lshl_u32 v14, v7, v12, 2
	ds_bpermute_b32 v15, v14, v2
	ds_bpermute_b32 v7, v14, v3
	s_waitcnt lgkmcnt(2)
	ds_bpermute_b32 v8, v14, v4
	;; [unrolled: 38-line block ×3, first 2 shown]
	s_waitcnt lgkmcnt(2)
	v_cmp_ne_u32_e64 s[0:1], 0, v17
	s_and_saveexec_b64 s[8:9], s[0:1]
	s_cbranch_execz .LBB7_24
; %bb.21:
	s_waitcnt lgkmcnt(0)
	v_cmp_nlt_f64_e64 s[0:1], v[5:6], v[7:8]
	v_cmp_ne_u32_e64 s[2:3], 0, v2
	v_mov_b32_e32 v10, v8
	v_mov_b32_e32 v9, v7
	s_and_b64 s[0:1], s[2:3], s[0:1]
	s_and_saveexec_b64 s[2:3], s[0:1]
	s_cbranch_execz .LBB7_23
; %bb.22:
	v_cmp_eq_f64_e64 s[0:1], v[5:6], v[7:8]
	v_min_i32_e32 v9, v17, v2
	v_mov_b32_e32 v7, v3
	v_mov_b32_e32 v8, v4
	v_cndmask_b32_e64 v17, v2, v9, s[0:1]
	v_mov_b32_e32 v10, v6
	v_mov_b32_e32 v9, v5
.LBB7_23:
	s_or_b64 exec, exec, s[2:3]
	v_mov_b32_e32 v5, v9
	v_mov_b32_e32 v4, v8
	;; [unrolled: 1-line block ×5, first 2 shown]
.LBB7_24:
	s_or_b64 exec, exec, s[8:9]
	v_cmp_ne_u32_e64 s[0:1], 63, v16
	s_waitcnt lgkmcnt(1)
	v_addc_co_u32_e64 v7, s[0:1], 0, v12, s[0:1]
	v_lshlrev_b32_e32 v9, 2, v7
	ds_bpermute_b32 v7, v9, v2
	ds_bpermute_b32 v3, v9, v3
	;; [unrolled: 1-line block ×3, first 2 shown]
	s_waitcnt lgkmcnt(2)
	v_cmp_ne_u32_e64 s[0:1], 0, v7
	s_and_saveexec_b64 s[14:15], s[0:1]
	s_cbranch_execz .LBB7_26
; %bb.25:
	s_waitcnt lgkmcnt(0)
	v_cmp_lt_f64_e64 s[0:1], v[5:6], v[3:4]
	v_cmp_eq_f64_e64 s[8:9], v[5:6], v[3:4]
	v_cmp_eq_u32_e64 s[2:3], 0, v2
	v_min_i32_e32 v8, v7, v2
	s_or_b64 s[0:1], s[2:3], s[0:1]
	v_cndmask_b32_e64 v2, v2, v8, s[8:9]
	v_cndmask_b32_e64 v2, v2, v7, s[0:1]
	;; [unrolled: 1-line block ×4, first 2 shown]
.LBB7_26:
	s_or_b64 exec, exec, s[14:15]
	v_cmp_eq_u32_e64 s[0:1], 0, v1
	s_and_saveexec_b64 s[2:3], s[0:1]
	s_cbranch_execz .LBB7_28
; %bb.27:
	v_lshrrev_b32_e32 v1, 2, v0
	v_and_b32_e32 v1, 0xf0, v1
	ds_write_b32 v1, v2
	ds_write_b64 v1, v[5:6] offset:8
.LBB7_28:
	s_or_b64 exec, exec, s[2:3]
	v_mov_b32_e32 v1, 0
	v_cmp_gt_u32_e64 s[0:1], 16, v0
	v_mov_b32_e32 v2, 0
	v_mov_b32_e32 v10, 0
	s_waitcnt lgkmcnt(0)
	s_barrier
	s_and_saveexec_b64 s[2:3], s[0:1]
	s_cbranch_execz .LBB7_30
; %bb.29:
	ds_read_b32 v10, v11
	ds_read_b64 v[1:2], v11 offset:8
.LBB7_30:
	s_or_b64 exec, exec, s[2:3]
	s_and_saveexec_b64 s[8:9], vcc
	s_cbranch_execz .LBB7_46
; %bb.31:
	s_waitcnt lgkmcnt(1)
	ds_bpermute_b32 v7, v13, v10
	s_waitcnt lgkmcnt(1)
	ds_bpermute_b32 v5, v13, v1
	ds_bpermute_b32 v6, v13, v2
	v_mov_b32_e32 v4, v2
	v_mov_b32_e32 v3, v1
	s_waitcnt lgkmcnt(2)
	v_cmp_ne_u32_e32 vcc, 0, v7
	s_and_saveexec_b64 s[2:3], vcc
	s_cbranch_execz .LBB7_35
; %bb.32:
	s_waitcnt lgkmcnt(0)
	v_cmp_nlt_f64_e32 vcc, v[1:2], v[5:6]
	v_cmp_ne_u32_e64 s[0:1], 0, v10
	v_mov_b32_e32 v3, v5
	v_mov_b32_e32 v4, v6
	s_and_b64 s[14:15], s[0:1], vcc
	s_and_saveexec_b64 s[0:1], s[14:15]
	s_cbranch_execz .LBB7_34
; %bb.33:
	v_cmp_eq_f64_e32 vcc, v[1:2], v[5:6]
	v_min_i32_e32 v3, v7, v10
	v_mov_b32_e32 v5, v1
	v_mov_b32_e32 v6, v2
	v_cndmask_b32_e32 v7, v10, v3, vcc
	v_mov_b32_e32 v4, v2
	v_mov_b32_e32 v3, v1
.LBB7_34:
	s_or_b64 exec, exec, s[0:1]
	v_mov_b32_e32 v2, v6
	v_mov_b32_e32 v1, v5
	;; [unrolled: 1-line block ×3, first 2 shown]
.LBB7_35:
	s_or_b64 exec, exec, s[2:3]
	ds_bpermute_b32 v11, v14, v10
	s_waitcnt lgkmcnt(2)
	ds_bpermute_b32 v5, v14, v1
	s_waitcnt lgkmcnt(2)
	;; [unrolled: 2-line block ×3, first 2 shown]
	v_cmp_ne_u32_e32 vcc, 0, v11
	s_and_saveexec_b64 s[2:3], vcc
	s_cbranch_execz .LBB7_39
; %bb.36:
	s_waitcnt lgkmcnt(0)
	v_cmp_nlt_f64_e32 vcc, v[3:4], v[5:6]
	v_cmp_ne_u32_e64 s[0:1], 0, v10
	v_mov_b32_e32 v8, v6
	v_mov_b32_e32 v7, v5
	s_and_b64 s[14:15], s[0:1], vcc
	s_and_saveexec_b64 s[0:1], s[14:15]
	s_cbranch_execz .LBB7_38
; %bb.37:
	v_cmp_eq_f64_e32 vcc, v[3:4], v[5:6]
	v_min_i32_e32 v7, v11, v10
	v_mov_b32_e32 v5, v1
	v_mov_b32_e32 v6, v2
	v_cndmask_b32_e32 v11, v10, v7, vcc
	v_mov_b32_e32 v8, v4
	v_mov_b32_e32 v7, v3
.LBB7_38:
	s_or_b64 exec, exec, s[0:1]
	v_mov_b32_e32 v3, v7
	v_mov_b32_e32 v2, v6
	;; [unrolled: 1-line block ×5, first 2 shown]
.LBB7_39:
	s_or_b64 exec, exec, s[2:3]
	ds_bpermute_b32 v11, v15, v10
	s_waitcnt lgkmcnt(2)
	ds_bpermute_b32 v5, v15, v1
	s_waitcnt lgkmcnt(2)
	;; [unrolled: 2-line block ×3, first 2 shown]
	v_cmp_ne_u32_e32 vcc, 0, v11
	s_and_saveexec_b64 s[2:3], vcc
	s_cbranch_execz .LBB7_43
; %bb.40:
	s_waitcnt lgkmcnt(0)
	v_cmp_nlt_f64_e32 vcc, v[3:4], v[5:6]
	v_cmp_ne_u32_e64 s[0:1], 0, v10
	v_mov_b32_e32 v8, v6
	v_mov_b32_e32 v7, v5
	s_and_b64 s[14:15], s[0:1], vcc
	s_and_saveexec_b64 s[0:1], s[14:15]
	s_cbranch_execz .LBB7_42
; %bb.41:
	v_cmp_eq_f64_e32 vcc, v[3:4], v[5:6]
	v_min_i32_e32 v7, v11, v10
	v_mov_b32_e32 v5, v1
	v_mov_b32_e32 v6, v2
	v_cndmask_b32_e32 v11, v10, v7, vcc
	v_mov_b32_e32 v8, v4
	v_mov_b32_e32 v7, v3
.LBB7_42:
	s_or_b64 exec, exec, s[0:1]
	v_mov_b32_e32 v3, v7
	v_mov_b32_e32 v2, v6
	;; [unrolled: 1-line block ×5, first 2 shown]
.LBB7_43:
	s_or_b64 exec, exec, s[2:3]
	s_waitcnt lgkmcnt(1)
	ds_bpermute_b32 v5, v9, v10
	ds_bpermute_b32 v1, v9, v1
	;; [unrolled: 1-line block ×3, first 2 shown]
	s_waitcnt lgkmcnt(2)
	v_cmp_ne_u32_e32 vcc, 0, v5
	s_and_saveexec_b64 s[14:15], vcc
	s_cbranch_execz .LBB7_45
; %bb.44:
	s_waitcnt lgkmcnt(0)
	v_cmp_lt_f64_e32 vcc, v[3:4], v[1:2]
	v_cmp_eq_f64_e64 s[2:3], v[3:4], v[1:2]
	v_cmp_eq_u32_e64 s[0:1], 0, v10
	v_min_i32_e32 v6, v5, v10
	s_or_b64 vcc, s[0:1], vcc
	v_cndmask_b32_e64 v6, v10, v6, s[2:3]
	v_cndmask_b32_e32 v10, v6, v5, vcc
	v_cndmask_b32_e32 v4, v4, v2, vcc
	;; [unrolled: 1-line block ×3, first 2 shown]
.LBB7_45:
	s_or_b64 exec, exec, s[14:15]
	s_waitcnt lgkmcnt(0)
	v_mov_b32_e32 v1, v3
	v_mov_b32_e32 v2, v4
.LBB7_46:
	s_or_b64 exec, exec, s[8:9]
	s_mov_b32 s1, 0
	v_cmp_eq_u32_e32 vcc, 0, v0
	s_and_saveexec_b64 s[2:3], vcc
	s_cbranch_execz .LBB7_48
; %bb.47:
	s_load_dwordx2 s[2:3], s[4:5], 0x30
	s_mul_i32 s0, s13, s10
	s_add_i32 s0, s0, s6
	s_lshl_b64 s[0:1], s[0:1], 4
	v_mov_b32_e32 v0, 0
	s_waitcnt lgkmcnt(0)
	s_add_u32 s0, s2, s0
	s_addc_u32 s1, s3, s1
	global_store_dword v0, v10, s[0:1]
	global_store_dwordx2 v0, v[1:2], s[0:1] offset:8
.LBB7_48:
	s_endpgm
	.section	.rodata,"a",@progbits
	.p2align	6, 0x0
	.amdhsa_kernel _ZL32rocblas_iamax_iamin_kernel_part1ILi1024E23rocblas_fetch_amax_aminIdE19rocblas_reduce_amaxPKPKd21rocblas_index_value_tIdEEviiT2_liliPT3_
		.amdhsa_group_segment_fixed_size 1024
		.amdhsa_private_segment_fixed_size 0
		.amdhsa_kernarg_size 56
		.amdhsa_user_sgpr_count 6
		.amdhsa_user_sgpr_private_segment_buffer 1
		.amdhsa_user_sgpr_dispatch_ptr 0
		.amdhsa_user_sgpr_queue_ptr 0
		.amdhsa_user_sgpr_kernarg_segment_ptr 1
		.amdhsa_user_sgpr_dispatch_id 0
		.amdhsa_user_sgpr_flat_scratch_init 0
		.amdhsa_user_sgpr_private_segment_size 0
		.amdhsa_uses_dynamic_stack 0
		.amdhsa_system_sgpr_private_segment_wavefront_offset 0
		.amdhsa_system_sgpr_workgroup_id_x 1
		.amdhsa_system_sgpr_workgroup_id_y 0
		.amdhsa_system_sgpr_workgroup_id_z 1
		.amdhsa_system_sgpr_workgroup_info 0
		.amdhsa_system_vgpr_workitem_id 0
		.amdhsa_next_free_vgpr 18
		.amdhsa_next_free_sgpr 20
		.amdhsa_reserve_vcc 1
		.amdhsa_reserve_flat_scratch 0
		.amdhsa_float_round_mode_32 0
		.amdhsa_float_round_mode_16_64 0
		.amdhsa_float_denorm_mode_32 3
		.amdhsa_float_denorm_mode_16_64 3
		.amdhsa_dx10_clamp 1
		.amdhsa_ieee_mode 1
		.amdhsa_fp16_overflow 0
		.amdhsa_exception_fp_ieee_invalid_op 0
		.amdhsa_exception_fp_denorm_src 0
		.amdhsa_exception_fp_ieee_div_zero 0
		.amdhsa_exception_fp_ieee_overflow 0
		.amdhsa_exception_fp_ieee_underflow 0
		.amdhsa_exception_fp_ieee_inexact 0
		.amdhsa_exception_int_div_zero 0
	.end_amdhsa_kernel
	.section	.text._ZL32rocblas_iamax_iamin_kernel_part1ILi1024E23rocblas_fetch_amax_aminIdE19rocblas_reduce_amaxPKPKd21rocblas_index_value_tIdEEviiT2_liliPT3_,"axG",@progbits,_ZL32rocblas_iamax_iamin_kernel_part1ILi1024E23rocblas_fetch_amax_aminIdE19rocblas_reduce_amaxPKPKd21rocblas_index_value_tIdEEviiT2_liliPT3_,comdat
.Lfunc_end7:
	.size	_ZL32rocblas_iamax_iamin_kernel_part1ILi1024E23rocblas_fetch_amax_aminIdE19rocblas_reduce_amaxPKPKd21rocblas_index_value_tIdEEviiT2_liliPT3_, .Lfunc_end7-_ZL32rocblas_iamax_iamin_kernel_part1ILi1024E23rocblas_fetch_amax_aminIdE19rocblas_reduce_amaxPKPKd21rocblas_index_value_tIdEEviiT2_liliPT3_
                                        ; -- End function
	.set _ZL32rocblas_iamax_iamin_kernel_part1ILi1024E23rocblas_fetch_amax_aminIdE19rocblas_reduce_amaxPKPKd21rocblas_index_value_tIdEEviiT2_liliPT3_.num_vgpr, 18
	.set _ZL32rocblas_iamax_iamin_kernel_part1ILi1024E23rocblas_fetch_amax_aminIdE19rocblas_reduce_amaxPKPKd21rocblas_index_value_tIdEEviiT2_liliPT3_.num_agpr, 0
	.set _ZL32rocblas_iamax_iamin_kernel_part1ILi1024E23rocblas_fetch_amax_aminIdE19rocblas_reduce_amaxPKPKd21rocblas_index_value_tIdEEviiT2_liliPT3_.numbered_sgpr, 20
	.set _ZL32rocblas_iamax_iamin_kernel_part1ILi1024E23rocblas_fetch_amax_aminIdE19rocblas_reduce_amaxPKPKd21rocblas_index_value_tIdEEviiT2_liliPT3_.num_named_barrier, 0
	.set _ZL32rocblas_iamax_iamin_kernel_part1ILi1024E23rocblas_fetch_amax_aminIdE19rocblas_reduce_amaxPKPKd21rocblas_index_value_tIdEEviiT2_liliPT3_.private_seg_size, 0
	.set _ZL32rocblas_iamax_iamin_kernel_part1ILi1024E23rocblas_fetch_amax_aminIdE19rocblas_reduce_amaxPKPKd21rocblas_index_value_tIdEEviiT2_liliPT3_.uses_vcc, 1
	.set _ZL32rocblas_iamax_iamin_kernel_part1ILi1024E23rocblas_fetch_amax_aminIdE19rocblas_reduce_amaxPKPKd21rocblas_index_value_tIdEEviiT2_liliPT3_.uses_flat_scratch, 0
	.set _ZL32rocblas_iamax_iamin_kernel_part1ILi1024E23rocblas_fetch_amax_aminIdE19rocblas_reduce_amaxPKPKd21rocblas_index_value_tIdEEviiT2_liliPT3_.has_dyn_sized_stack, 0
	.set _ZL32rocblas_iamax_iamin_kernel_part1ILi1024E23rocblas_fetch_amax_aminIdE19rocblas_reduce_amaxPKPKd21rocblas_index_value_tIdEEviiT2_liliPT3_.has_recursion, 0
	.set _ZL32rocblas_iamax_iamin_kernel_part1ILi1024E23rocblas_fetch_amax_aminIdE19rocblas_reduce_amaxPKPKd21rocblas_index_value_tIdEEviiT2_liliPT3_.has_indirect_call, 0
	.section	.AMDGPU.csdata,"",@progbits
; Kernel info:
; codeLenInByte = 1992
; TotalNumSgprs: 24
; NumVgprs: 18
; ScratchSize: 0
; MemoryBound: 0
; FloatMode: 240
; IeeeMode: 1
; LDSByteSize: 1024 bytes/workgroup (compile time only)
; SGPRBlocks: 2
; VGPRBlocks: 4
; NumSGPRsForWavesPerEU: 24
; NumVGPRsForWavesPerEU: 18
; Occupancy: 10
; WaveLimiterHint : 1
; COMPUTE_PGM_RSRC2:SCRATCH_EN: 0
; COMPUTE_PGM_RSRC2:USER_SGPR: 6
; COMPUTE_PGM_RSRC2:TRAP_HANDLER: 0
; COMPUTE_PGM_RSRC2:TGID_X_EN: 1
; COMPUTE_PGM_RSRC2:TGID_Y_EN: 0
; COMPUTE_PGM_RSRC2:TGID_Z_EN: 1
; COMPUTE_PGM_RSRC2:TIDIG_COMP_CNT: 0
	.section	.text._ZL32rocblas_iamax_iamin_kernel_part1ILi1024E23rocblas_fetch_amax_aminIfE19rocblas_reduce_amaxPKPK19rocblas_complex_numIfE21rocblas_index_value_tIfEEviiT2_liliPT3_,"axG",@progbits,_ZL32rocblas_iamax_iamin_kernel_part1ILi1024E23rocblas_fetch_amax_aminIfE19rocblas_reduce_amaxPKPK19rocblas_complex_numIfE21rocblas_index_value_tIfEEviiT2_liliPT3_,comdat
	.globl	_ZL32rocblas_iamax_iamin_kernel_part1ILi1024E23rocblas_fetch_amax_aminIfE19rocblas_reduce_amaxPKPK19rocblas_complex_numIfE21rocblas_index_value_tIfEEviiT2_liliPT3_ ; -- Begin function _ZL32rocblas_iamax_iamin_kernel_part1ILi1024E23rocblas_fetch_amax_aminIfE19rocblas_reduce_amaxPKPK19rocblas_complex_numIfE21rocblas_index_value_tIfEEviiT2_liliPT3_
	.p2align	8
	.type	_ZL32rocblas_iamax_iamin_kernel_part1ILi1024E23rocblas_fetch_amax_aminIfE19rocblas_reduce_amaxPKPK19rocblas_complex_numIfE21rocblas_index_value_tIfEEviiT2_liliPT3_,@function
_ZL32rocblas_iamax_iamin_kernel_part1ILi1024E23rocblas_fetch_amax_aminIfE19rocblas_reduce_amaxPKPK19rocblas_complex_numIfE21rocblas_index_value_tIfEEviiT2_liliPT3_: ; @_ZL32rocblas_iamax_iamin_kernel_part1ILi1024E23rocblas_fetch_amax_aminIfE19rocblas_reduce_amaxPKPK19rocblas_complex_numIfE21rocblas_index_value_tIfEEviiT2_liliPT3_
; %bb.0:
	s_load_dwordx2 s[12:13], s[4:5], 0x0
	v_lshl_or_b32 v1, s6, 10, v0
	v_mov_b32_e32 v2, 0
	s_mov_b32 s10, s7
                                        ; implicit-def: $vgpr3
	s_waitcnt lgkmcnt(0)
	s_ashr_i32 s1, s12, 31
	s_mov_b32 s0, s12
	v_cmp_gt_i64_e32 vcc, s[0:1], v[1:2]
	s_and_saveexec_b64 s[0:1], vcc
	s_cbranch_execz .LBB8_2
; %bb.1:
	s_load_dword s7, s[4:5], 0x18
	s_load_dwordx4 s[16:19], s[4:5], 0x8
	s_mov_b32 s11, 0
	s_lshl_b64 s[2:3], s[10:11], 3
	s_waitcnt lgkmcnt(0)
	s_ashr_i32 s11, s7, 31
	v_mad_u64_u32 v[2:3], s[8:9], s7, v1, 0
	s_add_u32 s2, s16, s2
	s_addc_u32 s3, s17, s3
	s_load_dwordx2 s[2:3], s[2:3], 0x0
	v_mad_u64_u32 v[3:4], s[8:9], s11, v1, v[3:4]
	s_lshl_b64 s[8:9], s[18:19], 3
	s_waitcnt lgkmcnt(0)
	s_add_u32 s2, s2, s8
	v_lshlrev_b64 v[2:3], 3, v[2:3]
	s_addc_u32 s3, s3, s9
	v_mov_b32_e32 v4, s3
	v_add_co_u32_e32 v2, vcc, s2, v2
	v_addc_co_u32_e32 v3, vcc, v4, v3, vcc
	flat_load_dwordx2 v[3:4], v[2:3]
	v_add_u32_e32 v2, 1, v1
	s_waitcnt vmcnt(0) lgkmcnt(0)
	v_cmp_gt_f32_e32 vcc, 0, v3
	v_cndmask_b32_e64 v1, v3, -v3, vcc
	v_cmp_gt_f32_e32 vcc, 0, v4
	v_cndmask_b32_e64 v3, v4, -v4, vcc
	v_add_f32_e32 v3, v1, v3
.LBB8_2:
	s_or_b64 exec, exec, s[0:1]
	v_and_b32_e32 v1, 63, v0
	v_cmp_gt_u32_e32 vcc, 64, v0
	v_lshlrev_b32_e32 v4, 3, v1
	s_and_saveexec_b64 s[0:1], vcc
; %bb.3:
	v_mov_b32_e32 v5, 0
	v_mov_b32_e32 v6, v5
	ds_write_b64 v4, v[5:6]
; %bb.4:
	s_or_b64 exec, exec, s[0:1]
	v_mbcnt_lo_u32_b32 v5, -1, 0
	v_mbcnt_hi_u32_b32 v5, -1, v5
	v_mov_b32_e32 v6, 0x80
	v_lshl_or_b32 v7, v5, 2, v6
	ds_bpermute_b32 v6, v7, v2
	ds_bpermute_b32 v7, v7, v3
	s_waitcnt lgkmcnt(0)
	s_barrier
	v_cmp_ne_u32_e64 s[0:1], 0, v6
	s_and_saveexec_b64 s[14:15], s[0:1]
; %bb.5:
	v_cmp_eq_u32_e64 s[0:1], 0, v2
	v_cmp_lt_f32_e64 s[2:3], v3, v7
	v_min_i32_e32 v8, v6, v2
	v_cmp_eq_f32_e64 s[8:9], v3, v7
	v_cndmask_b32_e64 v2, v2, v8, s[8:9]
	s_or_b64 s[0:1], s[0:1], s[2:3]
	v_cndmask_b32_e64 v2, v2, v6, s[0:1]
	v_cndmask_b32_e64 v3, v3, v7, s[0:1]
; %bb.6:
	s_or_b64 exec, exec, s[14:15]
	v_and_b32_e32 v9, 63, v5
	v_cmp_gt_u32_e64 s[0:1], 48, v9
	v_cndmask_b32_e64 v6, 0, 16, s[0:1]
	v_add_lshl_u32 v7, v6, v5, 2
	ds_bpermute_b32 v6, v7, v2
	ds_bpermute_b32 v7, v7, v3
	v_mov_b32_e32 v10, v3
	s_waitcnt lgkmcnt(1)
	v_cmp_ne_u32_e64 s[0:1], 0, v6
	s_and_saveexec_b64 s[8:9], s[0:1]
	s_cbranch_execz .LBB8_10
; %bb.7:
	v_cmp_ne_u32_e64 s[0:1], 0, v2
	s_waitcnt lgkmcnt(0)
	v_cmp_nlt_f32_e64 s[2:3], v3, v7
	s_and_b64 s[0:1], s[0:1], s[2:3]
	s_and_saveexec_b64 s[2:3], s[0:1]
; %bb.8:
	v_min_i32_e32 v6, v6, v2
	v_cmp_eq_f32_e64 s[0:1], v3, v7
	v_cndmask_b32_e64 v6, v2, v6, s[0:1]
	v_mov_b32_e32 v7, v3
; %bb.9:
	s_or_b64 exec, exec, s[2:3]
	v_mov_b32_e32 v3, v7
	v_mov_b32_e32 v2, v6
	;; [unrolled: 1-line block ×3, first 2 shown]
.LBB8_10:
	s_or_b64 exec, exec, s[8:9]
	v_cmp_gt_u32_e64 s[0:1], 56, v9
	v_cndmask_b32_e64 v6, 0, 8, s[0:1]
	v_add_lshl_u32 v6, v6, v5, 2
	s_waitcnt lgkmcnt(0)
	ds_bpermute_b32 v7, v6, v2
	ds_bpermute_b32 v8, v6, v3
	s_waitcnt lgkmcnt(1)
	v_cmp_ne_u32_e64 s[0:1], 0, v7
	s_and_saveexec_b64 s[8:9], s[0:1]
	s_cbranch_execz .LBB8_14
; %bb.11:
	v_cmp_ne_u32_e64 s[0:1], 0, v2
	s_waitcnt lgkmcnt(0)
	v_cmp_nlt_f32_e64 s[2:3], v10, v8
	s_and_b64 s[0:1], s[0:1], s[2:3]
	v_mov_b32_e32 v11, v8
	s_and_saveexec_b64 s[2:3], s[0:1]
; %bb.12:
	v_min_i32_e32 v7, v7, v2
	v_cmp_eq_f32_e64 s[0:1], v10, v8
	v_cndmask_b32_e64 v7, v2, v7, s[0:1]
	v_mov_b32_e32 v11, v10
	v_mov_b32_e32 v8, v3
; %bb.13:
	s_or_b64 exec, exec, s[2:3]
	v_mov_b32_e32 v3, v8
	v_mov_b32_e32 v2, v7
	v_mov_b32_e32 v10, v11
.LBB8_14:
	s_or_b64 exec, exec, s[8:9]
	v_cmp_gt_u32_e64 s[0:1], 60, v9
	v_cndmask_b32_e64 v7, 0, 4, s[0:1]
	v_add_lshl_u32 v7, v7, v5, 2
	s_waitcnt lgkmcnt(0)
	ds_bpermute_b32 v8, v7, v2
	ds_bpermute_b32 v11, v7, v3
	s_waitcnt lgkmcnt(1)
	v_cmp_ne_u32_e64 s[0:1], 0, v8
	s_and_saveexec_b64 s[8:9], s[0:1]
	s_cbranch_execz .LBB8_18
; %bb.15:
	v_cmp_ne_u32_e64 s[0:1], 0, v2
	s_waitcnt lgkmcnt(0)
	v_cmp_nlt_f32_e64 s[2:3], v10, v11
	s_and_b64 s[0:1], s[0:1], s[2:3]
	v_mov_b32_e32 v12, v11
	s_and_saveexec_b64 s[2:3], s[0:1]
; %bb.16:
	v_min_i32_e32 v8, v8, v2
	v_cmp_eq_f32_e64 s[0:1], v10, v11
	v_cndmask_b32_e64 v8, v2, v8, s[0:1]
	v_mov_b32_e32 v12, v10
	v_mov_b32_e32 v11, v3
; %bb.17:
	s_or_b64 exec, exec, s[2:3]
	v_mov_b32_e32 v3, v11
	v_mov_b32_e32 v2, v8
	v_mov_b32_e32 v10, v12
.LBB8_18:
	s_or_b64 exec, exec, s[8:9]
	v_cmp_gt_u32_e64 s[0:1], 62, v9
	v_cndmask_b32_e64 v8, 0, 2, s[0:1]
	v_add_lshl_u32 v8, v8, v5, 2
	s_waitcnt lgkmcnt(0)
	ds_bpermute_b32 v11, v8, v2
	ds_bpermute_b32 v12, v8, v3
	s_waitcnt lgkmcnt(1)
	v_cmp_ne_u32_e64 s[0:1], 0, v11
	s_and_saveexec_b64 s[8:9], s[0:1]
	s_cbranch_execz .LBB8_22
; %bb.19:
	v_cmp_ne_u32_e64 s[0:1], 0, v2
	s_waitcnt lgkmcnt(0)
	v_cmp_nlt_f32_e64 s[2:3], v10, v12
	s_and_b64 s[0:1], s[0:1], s[2:3]
	v_mov_b32_e32 v13, v12
	s_and_saveexec_b64 s[2:3], s[0:1]
; %bb.20:
	v_min_i32_e32 v11, v11, v2
	v_cmp_eq_f32_e64 s[0:1], v10, v12
	v_cndmask_b32_e64 v11, v2, v11, s[0:1]
	v_mov_b32_e32 v13, v10
	v_mov_b32_e32 v12, v3
; %bb.21:
	s_or_b64 exec, exec, s[2:3]
	v_mov_b32_e32 v3, v12
	v_mov_b32_e32 v2, v11
	v_mov_b32_e32 v10, v13
.LBB8_22:
	s_or_b64 exec, exec, s[8:9]
	v_cmp_ne_u32_e64 s[0:1], 63, v9
	v_addc_co_u32_e64 v5, s[0:1], 0, v5, s[0:1]
	v_lshlrev_b32_e32 v5, 2, v5
	ds_bpermute_b32 v9, v5, v2
	ds_bpermute_b32 v11, v5, v3
	s_waitcnt lgkmcnt(1)
	v_cmp_ne_u32_e64 s[0:1], 0, v9
	s_and_saveexec_b64 s[14:15], s[0:1]
	s_cbranch_execz .LBB8_24
; %bb.23:
	v_cmp_eq_u32_e64 s[0:1], 0, v2
	s_waitcnt lgkmcnt(0)
	v_cmp_lt_f32_e64 s[2:3], v10, v11
	v_min_i32_e32 v12, v9, v2
	v_cmp_eq_f32_e64 s[8:9], v10, v11
	v_cndmask_b32_e64 v2, v2, v12, s[8:9]
	s_or_b64 s[0:1], s[0:1], s[2:3]
	v_cndmask_b32_e64 v3, v3, v11, s[0:1]
	v_cndmask_b32_e64 v2, v2, v9, s[0:1]
.LBB8_24:
	s_or_b64 exec, exec, s[14:15]
	v_cmp_eq_u32_e64 s[0:1], 0, v1
	s_and_saveexec_b64 s[2:3], s[0:1]
; %bb.25:
	v_lshrrev_b32_e32 v1, 3, v0
	v_and_b32_e32 v1, 0x78, v1
	ds_write_b64 v1, v[2:3]
; %bb.26:
	s_or_b64 exec, exec, s[2:3]
	v_cmp_gt_u32_e64 s[0:1], 16, v0
	v_mov_b32_e32 v1, 0
	v_mov_b32_e32 v2, 0
	s_waitcnt lgkmcnt(0)
	s_barrier
	s_and_saveexec_b64 s[2:3], s[0:1]
; %bb.27:
	ds_read_b64 v[1:2], v4
; %bb.28:
	s_or_b64 exec, exec, s[2:3]
	s_and_saveexec_b64 s[8:9], vcc
	s_cbranch_execz .LBB8_42
; %bb.29:
	s_waitcnt lgkmcnt(0)
	ds_bpermute_b32 v3, v6, v1
	ds_bpermute_b32 v4, v6, v2
	s_waitcnt lgkmcnt(1)
	v_cmp_ne_u32_e32 vcc, 0, v3
	s_and_saveexec_b64 s[14:15], vcc
	s_cbranch_execz .LBB8_31
; %bb.30:
	v_cmp_eq_u32_e32 vcc, 0, v1
	s_waitcnt lgkmcnt(0)
	v_cmp_lt_f32_e64 s[0:1], v2, v4
	v_min_i32_e32 v6, v3, v1
	v_cmp_eq_f32_e64 s[2:3], v2, v4
	v_cndmask_b32_e64 v1, v1, v6, s[2:3]
	s_or_b64 vcc, vcc, s[0:1]
	v_cndmask_b32_e32 v1, v1, v3, vcc
	v_cndmask_b32_e32 v2, v2, v4, vcc
.LBB8_31:
	s_or_b64 exec, exec, s[14:15]
	s_waitcnt lgkmcnt(0)
	ds_bpermute_b32 v4, v7, v1
	ds_bpermute_b32 v6, v7, v2
	v_mov_b32_e32 v3, v2
	s_waitcnt lgkmcnt(1)
	v_cmp_ne_u32_e32 vcc, 0, v4
	s_and_saveexec_b64 s[2:3], vcc
	s_cbranch_execz .LBB8_35
; %bb.32:
	v_cmp_ne_u32_e32 vcc, 0, v1
	s_waitcnt lgkmcnt(0)
	v_cmp_nlt_f32_e64 s[0:1], v2, v6
	s_and_b64 s[14:15], vcc, s[0:1]
	s_and_saveexec_b64 s[0:1], s[14:15]
; %bb.33:
	v_min_i32_e32 v3, v4, v1
	v_cmp_eq_f32_e32 vcc, v2, v6
	v_cndmask_b32_e32 v4, v1, v3, vcc
	v_mov_b32_e32 v6, v2
; %bb.34:
	s_or_b64 exec, exec, s[0:1]
	v_mov_b32_e32 v2, v6
	v_mov_b32_e32 v1, v4
	v_mov_b32_e32 v3, v6
.LBB8_35:
	s_or_b64 exec, exec, s[2:3]
	ds_bpermute_b32 v4, v8, v1
	s_waitcnt lgkmcnt(1)
	ds_bpermute_b32 v6, v8, v2
	s_waitcnt lgkmcnt(1)
	v_cmp_ne_u32_e32 vcc, 0, v4
	s_and_saveexec_b64 s[2:3], vcc
	s_cbranch_execz .LBB8_39
; %bb.36:
	v_cmp_ne_u32_e32 vcc, 0, v1
	s_waitcnt lgkmcnt(0)
	v_cmp_nlt_f32_e64 s[0:1], v3, v6
	s_and_b64 s[14:15], vcc, s[0:1]
	v_mov_b32_e32 v7, v6
	s_and_saveexec_b64 s[0:1], s[14:15]
; %bb.37:
	v_min_i32_e32 v4, v4, v1
	v_cmp_eq_f32_e32 vcc, v3, v6
	v_cndmask_b32_e32 v4, v1, v4, vcc
	v_mov_b32_e32 v7, v3
	v_mov_b32_e32 v6, v2
; %bb.38:
	s_or_b64 exec, exec, s[0:1]
	v_mov_b32_e32 v2, v6
	v_mov_b32_e32 v1, v4
	;; [unrolled: 1-line block ×3, first 2 shown]
.LBB8_39:
	s_or_b64 exec, exec, s[2:3]
	ds_bpermute_b32 v4, v5, v1
	ds_bpermute_b32 v5, v5, v2
	s_waitcnt lgkmcnt(1)
	v_cmp_ne_u32_e32 vcc, 0, v4
	s_and_saveexec_b64 s[14:15], vcc
	s_cbranch_execz .LBB8_41
; %bb.40:
	v_cmp_eq_u32_e32 vcc, 0, v1
	s_waitcnt lgkmcnt(0)
	v_cmp_lt_f32_e64 s[0:1], v3, v5
	v_min_i32_e32 v6, v4, v1
	v_cmp_eq_f32_e64 s[2:3], v3, v5
	v_cndmask_b32_e64 v1, v1, v6, s[2:3]
	s_or_b64 vcc, vcc, s[0:1]
	v_cndmask_b32_e32 v2, v2, v5, vcc
	v_cndmask_b32_e32 v1, v1, v4, vcc
.LBB8_41:
	s_or_b64 exec, exec, s[14:15]
.LBB8_42:
	s_or_b64 exec, exec, s[8:9]
	s_mov_b32 s1, 0
	v_cmp_eq_u32_e32 vcc, 0, v0
	s_and_saveexec_b64 s[2:3], vcc
	s_cbranch_execz .LBB8_44
; %bb.43:
	s_load_dwordx2 s[2:3], s[4:5], 0x30
	s_mul_i32 s0, s13, s10
	s_add_i32 s0, s0, s6
	s_lshl_b64 s[0:1], s[0:1], 3
	v_mov_b32_e32 v0, 0
	s_waitcnt lgkmcnt(0)
	s_add_u32 s0, s2, s0
	s_addc_u32 s1, s3, s1
	global_store_dwordx2 v0, v[1:2], s[0:1]
.LBB8_44:
	s_endpgm
	.section	.rodata,"a",@progbits
	.p2align	6, 0x0
	.amdhsa_kernel _ZL32rocblas_iamax_iamin_kernel_part1ILi1024E23rocblas_fetch_amax_aminIfE19rocblas_reduce_amaxPKPK19rocblas_complex_numIfE21rocblas_index_value_tIfEEviiT2_liliPT3_
		.amdhsa_group_segment_fixed_size 512
		.amdhsa_private_segment_fixed_size 0
		.amdhsa_kernarg_size 56
		.amdhsa_user_sgpr_count 6
		.amdhsa_user_sgpr_private_segment_buffer 1
		.amdhsa_user_sgpr_dispatch_ptr 0
		.amdhsa_user_sgpr_queue_ptr 0
		.amdhsa_user_sgpr_kernarg_segment_ptr 1
		.amdhsa_user_sgpr_dispatch_id 0
		.amdhsa_user_sgpr_flat_scratch_init 0
		.amdhsa_user_sgpr_private_segment_size 0
		.amdhsa_uses_dynamic_stack 0
		.amdhsa_system_sgpr_private_segment_wavefront_offset 0
		.amdhsa_system_sgpr_workgroup_id_x 1
		.amdhsa_system_sgpr_workgroup_id_y 0
		.amdhsa_system_sgpr_workgroup_id_z 1
		.amdhsa_system_sgpr_workgroup_info 0
		.amdhsa_system_vgpr_workitem_id 0
		.amdhsa_next_free_vgpr 14
		.amdhsa_next_free_sgpr 20
		.amdhsa_reserve_vcc 1
		.amdhsa_reserve_flat_scratch 0
		.amdhsa_float_round_mode_32 0
		.amdhsa_float_round_mode_16_64 0
		.amdhsa_float_denorm_mode_32 3
		.amdhsa_float_denorm_mode_16_64 3
		.amdhsa_dx10_clamp 1
		.amdhsa_ieee_mode 1
		.amdhsa_fp16_overflow 0
		.amdhsa_exception_fp_ieee_invalid_op 0
		.amdhsa_exception_fp_denorm_src 0
		.amdhsa_exception_fp_ieee_div_zero 0
		.amdhsa_exception_fp_ieee_overflow 0
		.amdhsa_exception_fp_ieee_underflow 0
		.amdhsa_exception_fp_ieee_inexact 0
		.amdhsa_exception_int_div_zero 0
	.end_amdhsa_kernel
	.section	.text._ZL32rocblas_iamax_iamin_kernel_part1ILi1024E23rocblas_fetch_amax_aminIfE19rocblas_reduce_amaxPKPK19rocblas_complex_numIfE21rocblas_index_value_tIfEEviiT2_liliPT3_,"axG",@progbits,_ZL32rocblas_iamax_iamin_kernel_part1ILi1024E23rocblas_fetch_amax_aminIfE19rocblas_reduce_amaxPKPK19rocblas_complex_numIfE21rocblas_index_value_tIfEEviiT2_liliPT3_,comdat
.Lfunc_end8:
	.size	_ZL32rocblas_iamax_iamin_kernel_part1ILi1024E23rocblas_fetch_amax_aminIfE19rocblas_reduce_amaxPKPK19rocblas_complex_numIfE21rocblas_index_value_tIfEEviiT2_liliPT3_, .Lfunc_end8-_ZL32rocblas_iamax_iamin_kernel_part1ILi1024E23rocblas_fetch_amax_aminIfE19rocblas_reduce_amaxPKPK19rocblas_complex_numIfE21rocblas_index_value_tIfEEviiT2_liliPT3_
                                        ; -- End function
	.set _ZL32rocblas_iamax_iamin_kernel_part1ILi1024E23rocblas_fetch_amax_aminIfE19rocblas_reduce_amaxPKPK19rocblas_complex_numIfE21rocblas_index_value_tIfEEviiT2_liliPT3_.num_vgpr, 14
	.set _ZL32rocblas_iamax_iamin_kernel_part1ILi1024E23rocblas_fetch_amax_aminIfE19rocblas_reduce_amaxPKPK19rocblas_complex_numIfE21rocblas_index_value_tIfEEviiT2_liliPT3_.num_agpr, 0
	.set _ZL32rocblas_iamax_iamin_kernel_part1ILi1024E23rocblas_fetch_amax_aminIfE19rocblas_reduce_amaxPKPK19rocblas_complex_numIfE21rocblas_index_value_tIfEEviiT2_liliPT3_.numbered_sgpr, 20
	.set _ZL32rocblas_iamax_iamin_kernel_part1ILi1024E23rocblas_fetch_amax_aminIfE19rocblas_reduce_amaxPKPK19rocblas_complex_numIfE21rocblas_index_value_tIfEEviiT2_liliPT3_.num_named_barrier, 0
	.set _ZL32rocblas_iamax_iamin_kernel_part1ILi1024E23rocblas_fetch_amax_aminIfE19rocblas_reduce_amaxPKPK19rocblas_complex_numIfE21rocblas_index_value_tIfEEviiT2_liliPT3_.private_seg_size, 0
	.set _ZL32rocblas_iamax_iamin_kernel_part1ILi1024E23rocblas_fetch_amax_aminIfE19rocblas_reduce_amaxPKPK19rocblas_complex_numIfE21rocblas_index_value_tIfEEviiT2_liliPT3_.uses_vcc, 1
	.set _ZL32rocblas_iamax_iamin_kernel_part1ILi1024E23rocblas_fetch_amax_aminIfE19rocblas_reduce_amaxPKPK19rocblas_complex_numIfE21rocblas_index_value_tIfEEviiT2_liliPT3_.uses_flat_scratch, 0
	.set _ZL32rocblas_iamax_iamin_kernel_part1ILi1024E23rocblas_fetch_amax_aminIfE19rocblas_reduce_amaxPKPK19rocblas_complex_numIfE21rocblas_index_value_tIfEEviiT2_liliPT3_.has_dyn_sized_stack, 0
	.set _ZL32rocblas_iamax_iamin_kernel_part1ILi1024E23rocblas_fetch_amax_aminIfE19rocblas_reduce_amaxPKPK19rocblas_complex_numIfE21rocblas_index_value_tIfEEviiT2_liliPT3_.has_recursion, 0
	.set _ZL32rocblas_iamax_iamin_kernel_part1ILi1024E23rocblas_fetch_amax_aminIfE19rocblas_reduce_amaxPKPK19rocblas_complex_numIfE21rocblas_index_value_tIfEEviiT2_liliPT3_.has_indirect_call, 0
	.section	.AMDGPU.csdata,"",@progbits
; Kernel info:
; codeLenInByte = 1580
; TotalNumSgprs: 24
; NumVgprs: 14
; ScratchSize: 0
; MemoryBound: 0
; FloatMode: 240
; IeeeMode: 1
; LDSByteSize: 512 bytes/workgroup (compile time only)
; SGPRBlocks: 2
; VGPRBlocks: 3
; NumSGPRsForWavesPerEU: 24
; NumVGPRsForWavesPerEU: 14
; Occupancy: 10
; WaveLimiterHint : 1
; COMPUTE_PGM_RSRC2:SCRATCH_EN: 0
; COMPUTE_PGM_RSRC2:USER_SGPR: 6
; COMPUTE_PGM_RSRC2:TRAP_HANDLER: 0
; COMPUTE_PGM_RSRC2:TGID_X_EN: 1
; COMPUTE_PGM_RSRC2:TGID_Y_EN: 0
; COMPUTE_PGM_RSRC2:TGID_Z_EN: 1
; COMPUTE_PGM_RSRC2:TIDIG_COMP_CNT: 0
	.section	.text._ZL32rocblas_iamax_iamin_kernel_part1ILi1024E23rocblas_fetch_amax_aminIdE19rocblas_reduce_amaxPKPK19rocblas_complex_numIdE21rocblas_index_value_tIdEEviiT2_liliPT3_,"axG",@progbits,_ZL32rocblas_iamax_iamin_kernel_part1ILi1024E23rocblas_fetch_amax_aminIdE19rocblas_reduce_amaxPKPK19rocblas_complex_numIdE21rocblas_index_value_tIdEEviiT2_liliPT3_,comdat
	.globl	_ZL32rocblas_iamax_iamin_kernel_part1ILi1024E23rocblas_fetch_amax_aminIdE19rocblas_reduce_amaxPKPK19rocblas_complex_numIdE21rocblas_index_value_tIdEEviiT2_liliPT3_ ; -- Begin function _ZL32rocblas_iamax_iamin_kernel_part1ILi1024E23rocblas_fetch_amax_aminIdE19rocblas_reduce_amaxPKPK19rocblas_complex_numIdE21rocblas_index_value_tIdEEviiT2_liliPT3_
	.p2align	8
	.type	_ZL32rocblas_iamax_iamin_kernel_part1ILi1024E23rocblas_fetch_amax_aminIdE19rocblas_reduce_amaxPKPK19rocblas_complex_numIdE21rocblas_index_value_tIdEEviiT2_liliPT3_,@function
_ZL32rocblas_iamax_iamin_kernel_part1ILi1024E23rocblas_fetch_amax_aminIdE19rocblas_reduce_amaxPKPK19rocblas_complex_numIdE21rocblas_index_value_tIdEEviiT2_liliPT3_: ; @_ZL32rocblas_iamax_iamin_kernel_part1ILi1024E23rocblas_fetch_amax_aminIdE19rocblas_reduce_amaxPKPK19rocblas_complex_numIdE21rocblas_index_value_tIdEEviiT2_liliPT3_
; %bb.0:
	s_load_dwordx2 s[12:13], s[4:5], 0x0
	v_lshl_or_b32 v1, s6, 10, v0
	v_mov_b32_e32 v2, 0
	s_mov_b32 s10, s7
                                        ; implicit-def: $vgpr3_vgpr4
	s_waitcnt lgkmcnt(0)
	s_ashr_i32 s1, s12, 31
	s_mov_b32 s0, s12
	v_cmp_gt_i64_e32 vcc, s[0:1], v[1:2]
	s_and_saveexec_b64 s[0:1], vcc
	s_cbranch_execz .LBB9_2
; %bb.1:
	s_load_dword s7, s[4:5], 0x18
	s_load_dwordx4 s[16:19], s[4:5], 0x8
	s_mov_b32 s11, 0
	s_lshl_b64 s[2:3], s[10:11], 3
	s_waitcnt lgkmcnt(0)
	s_ashr_i32 s11, s7, 31
	v_mad_u64_u32 v[2:3], s[8:9], s7, v1, 0
	s_add_u32 s2, s16, s2
	s_addc_u32 s3, s17, s3
	s_load_dwordx2 s[2:3], s[2:3], 0x0
	v_mad_u64_u32 v[3:4], s[8:9], s11, v1, v[3:4]
	s_lshl_b64 s[8:9], s[18:19], 4
	s_waitcnt lgkmcnt(0)
	s_add_u32 s2, s2, s8
	v_lshlrev_b64 v[2:3], 4, v[2:3]
	s_addc_u32 s3, s3, s9
	v_mov_b32_e32 v4, s3
	v_add_co_u32_e32 v2, vcc, s2, v2
	v_addc_co_u32_e32 v3, vcc, v4, v3, vcc
	flat_load_dwordx4 v[2:5], v[2:3]
	s_waitcnt vmcnt(0) lgkmcnt(0)
	v_cmp_gt_f64_e32 vcc, 0, v[2:3]
	v_xor_b32_e32 v6, 0x80000000, v3
	v_xor_b32_e32 v7, 0x80000000, v5
	v_cndmask_b32_e32 v3, v3, v6, vcc
	v_cmp_gt_f64_e32 vcc, 0, v[4:5]
	v_cndmask_b32_e32 v5, v5, v7, vcc
	v_add_f64 v[3:4], v[2:3], v[4:5]
	v_add_u32_e32 v2, 1, v1
.LBB9_2:
	s_or_b64 exec, exec, s[0:1]
	v_and_b32_e32 v1, 63, v0
	v_cmp_gt_u32_e32 vcc, 64, v0
	v_lshlrev_b32_e32 v11, 4, v1
	s_and_saveexec_b64 s[0:1], vcc
	s_cbranch_execz .LBB9_4
; %bb.3:
	v_mov_b32_e32 v5, 0
	v_mov_b32_e32 v6, v5
	ds_write_b32 v11, v5
	ds_write_b64 v11, v[5:6] offset:8
.LBB9_4:
	s_or_b64 exec, exec, s[0:1]
	v_mbcnt_lo_u32_b32 v5, -1, 0
	v_mbcnt_hi_u32_b32 v12, -1, v5
	v_mov_b32_e32 v5, 0x80
	v_lshl_or_b32 v5, v12, 2, v5
	ds_bpermute_b32 v9, v5, v2
	ds_bpermute_b32 v7, v5, v3
	;; [unrolled: 1-line block ×3, first 2 shown]
	v_mov_b32_e32 v6, v4
	v_mov_b32_e32 v5, v3
	s_waitcnt lgkmcnt(2)
	v_cmp_ne_u32_e64 s[0:1], 0, v9
	s_waitcnt lgkmcnt(0)
	s_barrier
	s_and_saveexec_b64 s[8:9], s[0:1]
	s_cbranch_execz .LBB9_8
; %bb.5:
	v_cmp_nlt_f64_e64 s[0:1], v[3:4], v[7:8]
	v_cmp_ne_u32_e64 s[2:3], 0, v2
	v_mov_b32_e32 v5, v7
	v_mov_b32_e32 v6, v8
	s_and_b64 s[0:1], s[2:3], s[0:1]
	s_and_saveexec_b64 s[2:3], s[0:1]
	s_cbranch_execz .LBB9_7
; %bb.6:
	v_cmp_eq_f64_e64 s[0:1], v[3:4], v[7:8]
	v_min_i32_e32 v5, v9, v2
	v_mov_b32_e32 v7, v3
	v_mov_b32_e32 v8, v4
	v_cndmask_b32_e64 v9, v2, v5, s[0:1]
	v_mov_b32_e32 v6, v4
	v_mov_b32_e32 v5, v3
.LBB9_7:
	s_or_b64 exec, exec, s[2:3]
	v_mov_b32_e32 v4, v8
	v_mov_b32_e32 v3, v7
	;; [unrolled: 1-line block ×3, first 2 shown]
.LBB9_8:
	s_or_b64 exec, exec, s[8:9]
	v_and_b32_e32 v16, 63, v12
	v_cmp_gt_u32_e64 s[0:1], 48, v16
	v_cndmask_b32_e64 v7, 0, 16, s[0:1]
	v_add_lshl_u32 v8, v7, v12, 2
	ds_bpermute_b32 v13, v8, v2
	ds_bpermute_b32 v7, v8, v3
	;; [unrolled: 1-line block ×3, first 2 shown]
	s_waitcnt lgkmcnt(2)
	v_cmp_ne_u32_e64 s[0:1], 0, v13
	s_and_saveexec_b64 s[8:9], s[0:1]
	s_cbranch_execz .LBB9_12
; %bb.9:
	s_waitcnt lgkmcnt(0)
	v_cmp_nlt_f64_e64 s[0:1], v[5:6], v[7:8]
	v_cmp_ne_u32_e64 s[2:3], 0, v2
	v_mov_b32_e32 v10, v8
	v_mov_b32_e32 v9, v7
	s_and_b64 s[0:1], s[2:3], s[0:1]
	s_and_saveexec_b64 s[2:3], s[0:1]
	s_cbranch_execz .LBB9_11
; %bb.10:
	v_cmp_eq_f64_e64 s[0:1], v[5:6], v[7:8]
	v_min_i32_e32 v9, v13, v2
	v_mov_b32_e32 v7, v3
	v_mov_b32_e32 v8, v4
	v_cndmask_b32_e64 v13, v2, v9, s[0:1]
	v_mov_b32_e32 v10, v6
	v_mov_b32_e32 v9, v5
.LBB9_11:
	s_or_b64 exec, exec, s[2:3]
	v_mov_b32_e32 v5, v9
	v_mov_b32_e32 v4, v8
	v_mov_b32_e32 v3, v7
	v_mov_b32_e32 v2, v13
	v_mov_b32_e32 v6, v10
.LBB9_12:
	s_or_b64 exec, exec, s[8:9]
	v_cmp_gt_u32_e64 s[0:1], 56, v16
	s_waitcnt lgkmcnt(1)
	v_cndmask_b32_e64 v7, 0, 8, s[0:1]
	v_add_lshl_u32 v13, v7, v12, 2
	ds_bpermute_b32 v14, v13, v2
	ds_bpermute_b32 v7, v13, v3
	s_waitcnt lgkmcnt(2)
	ds_bpermute_b32 v8, v13, v4
	s_waitcnt lgkmcnt(2)
	v_cmp_ne_u32_e64 s[0:1], 0, v14
	s_and_saveexec_b64 s[8:9], s[0:1]
	s_cbranch_execz .LBB9_16
; %bb.13:
	s_waitcnt lgkmcnt(0)
	v_cmp_nlt_f64_e64 s[0:1], v[5:6], v[7:8]
	v_cmp_ne_u32_e64 s[2:3], 0, v2
	v_mov_b32_e32 v10, v8
	v_mov_b32_e32 v9, v7
	s_and_b64 s[0:1], s[2:3], s[0:1]
	s_and_saveexec_b64 s[2:3], s[0:1]
	s_cbranch_execz .LBB9_15
; %bb.14:
	v_cmp_eq_f64_e64 s[0:1], v[5:6], v[7:8]
	v_min_i32_e32 v9, v14, v2
	v_mov_b32_e32 v7, v3
	v_mov_b32_e32 v8, v4
	v_cndmask_b32_e64 v14, v2, v9, s[0:1]
	v_mov_b32_e32 v10, v6
	v_mov_b32_e32 v9, v5
.LBB9_15:
	s_or_b64 exec, exec, s[2:3]
	v_mov_b32_e32 v5, v9
	v_mov_b32_e32 v4, v8
	v_mov_b32_e32 v3, v7
	v_mov_b32_e32 v2, v14
	v_mov_b32_e32 v6, v10
.LBB9_16:
	s_or_b64 exec, exec, s[8:9]
	v_cmp_gt_u32_e64 s[0:1], 60, v16
	s_waitcnt lgkmcnt(1)
	v_cndmask_b32_e64 v7, 0, 4, s[0:1]
	v_add_lshl_u32 v14, v7, v12, 2
	ds_bpermute_b32 v15, v14, v2
	ds_bpermute_b32 v7, v14, v3
	s_waitcnt lgkmcnt(2)
	ds_bpermute_b32 v8, v14, v4
	;; [unrolled: 38-line block ×3, first 2 shown]
	s_waitcnt lgkmcnt(2)
	v_cmp_ne_u32_e64 s[0:1], 0, v17
	s_and_saveexec_b64 s[8:9], s[0:1]
	s_cbranch_execz .LBB9_24
; %bb.21:
	s_waitcnt lgkmcnt(0)
	v_cmp_nlt_f64_e64 s[0:1], v[5:6], v[7:8]
	v_cmp_ne_u32_e64 s[2:3], 0, v2
	v_mov_b32_e32 v10, v8
	v_mov_b32_e32 v9, v7
	s_and_b64 s[0:1], s[2:3], s[0:1]
	s_and_saveexec_b64 s[2:3], s[0:1]
	s_cbranch_execz .LBB9_23
; %bb.22:
	v_cmp_eq_f64_e64 s[0:1], v[5:6], v[7:8]
	v_min_i32_e32 v9, v17, v2
	v_mov_b32_e32 v7, v3
	v_mov_b32_e32 v8, v4
	v_cndmask_b32_e64 v17, v2, v9, s[0:1]
	v_mov_b32_e32 v10, v6
	v_mov_b32_e32 v9, v5
.LBB9_23:
	s_or_b64 exec, exec, s[2:3]
	v_mov_b32_e32 v5, v9
	v_mov_b32_e32 v4, v8
	;; [unrolled: 1-line block ×5, first 2 shown]
.LBB9_24:
	s_or_b64 exec, exec, s[8:9]
	v_cmp_ne_u32_e64 s[0:1], 63, v16
	s_waitcnt lgkmcnt(1)
	v_addc_co_u32_e64 v7, s[0:1], 0, v12, s[0:1]
	v_lshlrev_b32_e32 v9, 2, v7
	ds_bpermute_b32 v7, v9, v2
	ds_bpermute_b32 v3, v9, v3
	;; [unrolled: 1-line block ×3, first 2 shown]
	s_waitcnt lgkmcnt(2)
	v_cmp_ne_u32_e64 s[0:1], 0, v7
	s_and_saveexec_b64 s[14:15], s[0:1]
	s_cbranch_execz .LBB9_26
; %bb.25:
	s_waitcnt lgkmcnt(0)
	v_cmp_lt_f64_e64 s[0:1], v[5:6], v[3:4]
	v_cmp_eq_f64_e64 s[8:9], v[5:6], v[3:4]
	v_cmp_eq_u32_e64 s[2:3], 0, v2
	v_min_i32_e32 v8, v7, v2
	s_or_b64 s[0:1], s[2:3], s[0:1]
	v_cndmask_b32_e64 v2, v2, v8, s[8:9]
	v_cndmask_b32_e64 v2, v2, v7, s[0:1]
	;; [unrolled: 1-line block ×4, first 2 shown]
.LBB9_26:
	s_or_b64 exec, exec, s[14:15]
	v_cmp_eq_u32_e64 s[0:1], 0, v1
	s_and_saveexec_b64 s[2:3], s[0:1]
	s_cbranch_execz .LBB9_28
; %bb.27:
	v_lshrrev_b32_e32 v1, 2, v0
	v_and_b32_e32 v1, 0xf0, v1
	ds_write_b32 v1, v2
	ds_write_b64 v1, v[5:6] offset:8
.LBB9_28:
	s_or_b64 exec, exec, s[2:3]
	v_mov_b32_e32 v1, 0
	v_cmp_gt_u32_e64 s[0:1], 16, v0
	v_mov_b32_e32 v2, 0
	v_mov_b32_e32 v10, 0
	s_waitcnt lgkmcnt(0)
	s_barrier
	s_and_saveexec_b64 s[2:3], s[0:1]
	s_cbranch_execz .LBB9_30
; %bb.29:
	ds_read_b32 v10, v11
	ds_read_b64 v[1:2], v11 offset:8
.LBB9_30:
	s_or_b64 exec, exec, s[2:3]
	s_and_saveexec_b64 s[8:9], vcc
	s_cbranch_execz .LBB9_46
; %bb.31:
	s_waitcnt lgkmcnt(1)
	ds_bpermute_b32 v7, v13, v10
	s_waitcnt lgkmcnt(1)
	ds_bpermute_b32 v5, v13, v1
	ds_bpermute_b32 v6, v13, v2
	v_mov_b32_e32 v4, v2
	v_mov_b32_e32 v3, v1
	s_waitcnt lgkmcnt(2)
	v_cmp_ne_u32_e32 vcc, 0, v7
	s_and_saveexec_b64 s[2:3], vcc
	s_cbranch_execz .LBB9_35
; %bb.32:
	s_waitcnt lgkmcnt(0)
	v_cmp_nlt_f64_e32 vcc, v[1:2], v[5:6]
	v_cmp_ne_u32_e64 s[0:1], 0, v10
	v_mov_b32_e32 v3, v5
	v_mov_b32_e32 v4, v6
	s_and_b64 s[14:15], s[0:1], vcc
	s_and_saveexec_b64 s[0:1], s[14:15]
	s_cbranch_execz .LBB9_34
; %bb.33:
	v_cmp_eq_f64_e32 vcc, v[1:2], v[5:6]
	v_min_i32_e32 v3, v7, v10
	v_mov_b32_e32 v5, v1
	v_mov_b32_e32 v6, v2
	v_cndmask_b32_e32 v7, v10, v3, vcc
	v_mov_b32_e32 v4, v2
	v_mov_b32_e32 v3, v1
.LBB9_34:
	s_or_b64 exec, exec, s[0:1]
	v_mov_b32_e32 v2, v6
	v_mov_b32_e32 v1, v5
	;; [unrolled: 1-line block ×3, first 2 shown]
.LBB9_35:
	s_or_b64 exec, exec, s[2:3]
	ds_bpermute_b32 v11, v14, v10
	s_waitcnt lgkmcnt(2)
	ds_bpermute_b32 v5, v14, v1
	s_waitcnt lgkmcnt(2)
	;; [unrolled: 2-line block ×3, first 2 shown]
	v_cmp_ne_u32_e32 vcc, 0, v11
	s_and_saveexec_b64 s[2:3], vcc
	s_cbranch_execz .LBB9_39
; %bb.36:
	s_waitcnt lgkmcnt(0)
	v_cmp_nlt_f64_e32 vcc, v[3:4], v[5:6]
	v_cmp_ne_u32_e64 s[0:1], 0, v10
	v_mov_b32_e32 v8, v6
	v_mov_b32_e32 v7, v5
	s_and_b64 s[14:15], s[0:1], vcc
	s_and_saveexec_b64 s[0:1], s[14:15]
	s_cbranch_execz .LBB9_38
; %bb.37:
	v_cmp_eq_f64_e32 vcc, v[3:4], v[5:6]
	v_min_i32_e32 v7, v11, v10
	v_mov_b32_e32 v5, v1
	v_mov_b32_e32 v6, v2
	v_cndmask_b32_e32 v11, v10, v7, vcc
	v_mov_b32_e32 v8, v4
	v_mov_b32_e32 v7, v3
.LBB9_38:
	s_or_b64 exec, exec, s[0:1]
	v_mov_b32_e32 v3, v7
	v_mov_b32_e32 v2, v6
	;; [unrolled: 1-line block ×5, first 2 shown]
.LBB9_39:
	s_or_b64 exec, exec, s[2:3]
	ds_bpermute_b32 v11, v15, v10
	s_waitcnt lgkmcnt(2)
	ds_bpermute_b32 v5, v15, v1
	s_waitcnt lgkmcnt(2)
	;; [unrolled: 2-line block ×3, first 2 shown]
	v_cmp_ne_u32_e32 vcc, 0, v11
	s_and_saveexec_b64 s[2:3], vcc
	s_cbranch_execz .LBB9_43
; %bb.40:
	s_waitcnt lgkmcnt(0)
	v_cmp_nlt_f64_e32 vcc, v[3:4], v[5:6]
	v_cmp_ne_u32_e64 s[0:1], 0, v10
	v_mov_b32_e32 v8, v6
	v_mov_b32_e32 v7, v5
	s_and_b64 s[14:15], s[0:1], vcc
	s_and_saveexec_b64 s[0:1], s[14:15]
	s_cbranch_execz .LBB9_42
; %bb.41:
	v_cmp_eq_f64_e32 vcc, v[3:4], v[5:6]
	v_min_i32_e32 v7, v11, v10
	v_mov_b32_e32 v5, v1
	v_mov_b32_e32 v6, v2
	v_cndmask_b32_e32 v11, v10, v7, vcc
	v_mov_b32_e32 v8, v4
	v_mov_b32_e32 v7, v3
.LBB9_42:
	s_or_b64 exec, exec, s[0:1]
	v_mov_b32_e32 v3, v7
	v_mov_b32_e32 v2, v6
	;; [unrolled: 1-line block ×5, first 2 shown]
.LBB9_43:
	s_or_b64 exec, exec, s[2:3]
	s_waitcnt lgkmcnt(1)
	ds_bpermute_b32 v5, v9, v10
	ds_bpermute_b32 v1, v9, v1
	;; [unrolled: 1-line block ×3, first 2 shown]
	s_waitcnt lgkmcnt(2)
	v_cmp_ne_u32_e32 vcc, 0, v5
	s_and_saveexec_b64 s[14:15], vcc
	s_cbranch_execz .LBB9_45
; %bb.44:
	s_waitcnt lgkmcnt(0)
	v_cmp_lt_f64_e32 vcc, v[3:4], v[1:2]
	v_cmp_eq_f64_e64 s[2:3], v[3:4], v[1:2]
	v_cmp_eq_u32_e64 s[0:1], 0, v10
	v_min_i32_e32 v6, v5, v10
	s_or_b64 vcc, s[0:1], vcc
	v_cndmask_b32_e64 v6, v10, v6, s[2:3]
	v_cndmask_b32_e32 v10, v6, v5, vcc
	v_cndmask_b32_e32 v4, v4, v2, vcc
	;; [unrolled: 1-line block ×3, first 2 shown]
.LBB9_45:
	s_or_b64 exec, exec, s[14:15]
	s_waitcnt lgkmcnt(0)
	v_mov_b32_e32 v1, v3
	v_mov_b32_e32 v2, v4
.LBB9_46:
	s_or_b64 exec, exec, s[8:9]
	s_mov_b32 s1, 0
	v_cmp_eq_u32_e32 vcc, 0, v0
	s_and_saveexec_b64 s[2:3], vcc
	s_cbranch_execz .LBB9_48
; %bb.47:
	s_load_dwordx2 s[2:3], s[4:5], 0x30
	s_mul_i32 s0, s13, s10
	s_add_i32 s0, s0, s6
	s_lshl_b64 s[0:1], s[0:1], 4
	v_mov_b32_e32 v0, 0
	s_waitcnt lgkmcnt(0)
	s_add_u32 s0, s2, s0
	s_addc_u32 s1, s3, s1
	global_store_dword v0, v10, s[0:1]
	global_store_dwordx2 v0, v[1:2], s[0:1] offset:8
.LBB9_48:
	s_endpgm
	.section	.rodata,"a",@progbits
	.p2align	6, 0x0
	.amdhsa_kernel _ZL32rocblas_iamax_iamin_kernel_part1ILi1024E23rocblas_fetch_amax_aminIdE19rocblas_reduce_amaxPKPK19rocblas_complex_numIdE21rocblas_index_value_tIdEEviiT2_liliPT3_
		.amdhsa_group_segment_fixed_size 1024
		.amdhsa_private_segment_fixed_size 0
		.amdhsa_kernarg_size 56
		.amdhsa_user_sgpr_count 6
		.amdhsa_user_sgpr_private_segment_buffer 1
		.amdhsa_user_sgpr_dispatch_ptr 0
		.amdhsa_user_sgpr_queue_ptr 0
		.amdhsa_user_sgpr_kernarg_segment_ptr 1
		.amdhsa_user_sgpr_dispatch_id 0
		.amdhsa_user_sgpr_flat_scratch_init 0
		.amdhsa_user_sgpr_private_segment_size 0
		.amdhsa_uses_dynamic_stack 0
		.amdhsa_system_sgpr_private_segment_wavefront_offset 0
		.amdhsa_system_sgpr_workgroup_id_x 1
		.amdhsa_system_sgpr_workgroup_id_y 0
		.amdhsa_system_sgpr_workgroup_id_z 1
		.amdhsa_system_sgpr_workgroup_info 0
		.amdhsa_system_vgpr_workitem_id 0
		.amdhsa_next_free_vgpr 18
		.amdhsa_next_free_sgpr 20
		.amdhsa_reserve_vcc 1
		.amdhsa_reserve_flat_scratch 0
		.amdhsa_float_round_mode_32 0
		.amdhsa_float_round_mode_16_64 0
		.amdhsa_float_denorm_mode_32 3
		.amdhsa_float_denorm_mode_16_64 3
		.amdhsa_dx10_clamp 1
		.amdhsa_ieee_mode 1
		.amdhsa_fp16_overflow 0
		.amdhsa_exception_fp_ieee_invalid_op 0
		.amdhsa_exception_fp_denorm_src 0
		.amdhsa_exception_fp_ieee_div_zero 0
		.amdhsa_exception_fp_ieee_overflow 0
		.amdhsa_exception_fp_ieee_underflow 0
		.amdhsa_exception_fp_ieee_inexact 0
		.amdhsa_exception_int_div_zero 0
	.end_amdhsa_kernel
	.section	.text._ZL32rocblas_iamax_iamin_kernel_part1ILi1024E23rocblas_fetch_amax_aminIdE19rocblas_reduce_amaxPKPK19rocblas_complex_numIdE21rocblas_index_value_tIdEEviiT2_liliPT3_,"axG",@progbits,_ZL32rocblas_iamax_iamin_kernel_part1ILi1024E23rocblas_fetch_amax_aminIdE19rocblas_reduce_amaxPKPK19rocblas_complex_numIdE21rocblas_index_value_tIdEEviiT2_liliPT3_,comdat
.Lfunc_end9:
	.size	_ZL32rocblas_iamax_iamin_kernel_part1ILi1024E23rocblas_fetch_amax_aminIdE19rocblas_reduce_amaxPKPK19rocblas_complex_numIdE21rocblas_index_value_tIdEEviiT2_liliPT3_, .Lfunc_end9-_ZL32rocblas_iamax_iamin_kernel_part1ILi1024E23rocblas_fetch_amax_aminIdE19rocblas_reduce_amaxPKPK19rocblas_complex_numIdE21rocblas_index_value_tIdEEviiT2_liliPT3_
                                        ; -- End function
	.set _ZL32rocblas_iamax_iamin_kernel_part1ILi1024E23rocblas_fetch_amax_aminIdE19rocblas_reduce_amaxPKPK19rocblas_complex_numIdE21rocblas_index_value_tIdEEviiT2_liliPT3_.num_vgpr, 18
	.set _ZL32rocblas_iamax_iamin_kernel_part1ILi1024E23rocblas_fetch_amax_aminIdE19rocblas_reduce_amaxPKPK19rocblas_complex_numIdE21rocblas_index_value_tIdEEviiT2_liliPT3_.num_agpr, 0
	.set _ZL32rocblas_iamax_iamin_kernel_part1ILi1024E23rocblas_fetch_amax_aminIdE19rocblas_reduce_amaxPKPK19rocblas_complex_numIdE21rocblas_index_value_tIdEEviiT2_liliPT3_.numbered_sgpr, 20
	.set _ZL32rocblas_iamax_iamin_kernel_part1ILi1024E23rocblas_fetch_amax_aminIdE19rocblas_reduce_amaxPKPK19rocblas_complex_numIdE21rocblas_index_value_tIdEEviiT2_liliPT3_.num_named_barrier, 0
	.set _ZL32rocblas_iamax_iamin_kernel_part1ILi1024E23rocblas_fetch_amax_aminIdE19rocblas_reduce_amaxPKPK19rocblas_complex_numIdE21rocblas_index_value_tIdEEviiT2_liliPT3_.private_seg_size, 0
	.set _ZL32rocblas_iamax_iamin_kernel_part1ILi1024E23rocblas_fetch_amax_aminIdE19rocblas_reduce_amaxPKPK19rocblas_complex_numIdE21rocblas_index_value_tIdEEviiT2_liliPT3_.uses_vcc, 1
	.set _ZL32rocblas_iamax_iamin_kernel_part1ILi1024E23rocblas_fetch_amax_aminIdE19rocblas_reduce_amaxPKPK19rocblas_complex_numIdE21rocblas_index_value_tIdEEviiT2_liliPT3_.uses_flat_scratch, 0
	.set _ZL32rocblas_iamax_iamin_kernel_part1ILi1024E23rocblas_fetch_amax_aminIdE19rocblas_reduce_amaxPKPK19rocblas_complex_numIdE21rocblas_index_value_tIdEEviiT2_liliPT3_.has_dyn_sized_stack, 0
	.set _ZL32rocblas_iamax_iamin_kernel_part1ILi1024E23rocblas_fetch_amax_aminIdE19rocblas_reduce_amaxPKPK19rocblas_complex_numIdE21rocblas_index_value_tIdEEviiT2_liliPT3_.has_recursion, 0
	.set _ZL32rocblas_iamax_iamin_kernel_part1ILi1024E23rocblas_fetch_amax_aminIdE19rocblas_reduce_amaxPKPK19rocblas_complex_numIdE21rocblas_index_value_tIdEEviiT2_liliPT3_.has_indirect_call, 0
	.section	.AMDGPU.csdata,"",@progbits
; Kernel info:
; codeLenInByte = 2016
; TotalNumSgprs: 24
; NumVgprs: 18
; ScratchSize: 0
; MemoryBound: 0
; FloatMode: 240
; IeeeMode: 1
; LDSByteSize: 1024 bytes/workgroup (compile time only)
; SGPRBlocks: 2
; VGPRBlocks: 4
; NumSGPRsForWavesPerEU: 24
; NumVGPRsForWavesPerEU: 18
; Occupancy: 10
; WaveLimiterHint : 1
; COMPUTE_PGM_RSRC2:SCRATCH_EN: 0
; COMPUTE_PGM_RSRC2:USER_SGPR: 6
; COMPUTE_PGM_RSRC2:TRAP_HANDLER: 0
; COMPUTE_PGM_RSRC2:TGID_X_EN: 1
; COMPUTE_PGM_RSRC2:TGID_Y_EN: 0
; COMPUTE_PGM_RSRC2:TGID_Z_EN: 1
; COMPUTE_PGM_RSRC2:TIDIG_COMP_CNT: 0
	.section	.text._ZL32rocblas_iamax_iamin_kernel_part1ILi1024E23rocblas_fetch_amax_aminIfE19rocblas_reduce_aminPKf21rocblas_index_value_tIfEEviiT2_liliPT3_,"axG",@progbits,_ZL32rocblas_iamax_iamin_kernel_part1ILi1024E23rocblas_fetch_amax_aminIfE19rocblas_reduce_aminPKf21rocblas_index_value_tIfEEviiT2_liliPT3_,comdat
	.globl	_ZL32rocblas_iamax_iamin_kernel_part1ILi1024E23rocblas_fetch_amax_aminIfE19rocblas_reduce_aminPKf21rocblas_index_value_tIfEEviiT2_liliPT3_ ; -- Begin function _ZL32rocblas_iamax_iamin_kernel_part1ILi1024E23rocblas_fetch_amax_aminIfE19rocblas_reduce_aminPKf21rocblas_index_value_tIfEEviiT2_liliPT3_
	.p2align	8
	.type	_ZL32rocblas_iamax_iamin_kernel_part1ILi1024E23rocblas_fetch_amax_aminIfE19rocblas_reduce_aminPKf21rocblas_index_value_tIfEEviiT2_liliPT3_,@function
_ZL32rocblas_iamax_iamin_kernel_part1ILi1024E23rocblas_fetch_amax_aminIfE19rocblas_reduce_aminPKf21rocblas_index_value_tIfEEviiT2_liliPT3_: ; @_ZL32rocblas_iamax_iamin_kernel_part1ILi1024E23rocblas_fetch_amax_aminIfE19rocblas_reduce_aminPKf21rocblas_index_value_tIfEEviiT2_liliPT3_
; %bb.0:
	s_load_dwordx2 s[10:11], s[4:5], 0x0
	v_lshl_or_b32 v1, s6, 10, v0
	v_mov_b32_e32 v2, 0
                                        ; implicit-def: $vgpr3
	s_waitcnt lgkmcnt(0)
	s_ashr_i32 s1, s10, 31
	s_mov_b32 s0, s10
	v_cmp_gt_i64_e32 vcc, s[0:1], v[1:2]
	s_and_saveexec_b64 s[0:1], vcc
	s_cbranch_execz .LBB10_2
; %bb.1:
	s_load_dword s8, s[4:5], 0x18
	s_load_dwordx2 s[2:3], s[4:5], 0x20
	s_load_dwordx4 s[12:15], s[4:5], 0x8
	s_waitcnt lgkmcnt(0)
	s_ashr_i32 s10, s8, 31
	s_mul_i32 s3, s3, s7
	s_mul_hi_u32 s9, s2, s7
	s_add_i32 s3, s9, s3
	v_mad_u64_u32 v[2:3], s[8:9], s8, v1, 0
	s_mul_i32 s2, s2, s7
	s_lshl_b64 s[2:3], s[2:3], 2
	s_add_u32 s8, s12, s2
	s_addc_u32 s9, s13, s3
	v_mad_u64_u32 v[3:4], s[2:3], s10, v1, v[3:4]
	s_lshl_b64 s[2:3], s[14:15], 2
	s_add_u32 s2, s8, s2
	v_lshlrev_b64 v[2:3], 2, v[2:3]
	s_addc_u32 s3, s9, s3
	v_mov_b32_e32 v4, s3
	v_add_co_u32_e32 v2, vcc, s2, v2
	v_addc_co_u32_e32 v3, vcc, v4, v3, vcc
	global_load_dword v3, v[2:3], off
	v_add_u32_e32 v2, 1, v1
	s_waitcnt vmcnt(0)
	v_cmp_gt_f32_e32 vcc, 0, v3
	v_cndmask_b32_e64 v3, v3, -v3, vcc
.LBB10_2:
	s_or_b64 exec, exec, s[0:1]
	v_and_b32_e32 v1, 63, v0
	v_cmp_gt_u32_e32 vcc, 64, v0
	v_lshlrev_b32_e32 v4, 3, v1
	s_and_saveexec_b64 s[0:1], vcc
; %bb.3:
	v_mov_b32_e32 v5, 0
	v_mov_b32_e32 v6, v5
	ds_write_b64 v4, v[5:6]
; %bb.4:
	s_or_b64 exec, exec, s[0:1]
	v_mbcnt_lo_u32_b32 v5, -1, 0
	v_mbcnt_hi_u32_b32 v5, -1, v5
	v_mov_b32_e32 v6, 0x80
	v_lshl_or_b32 v7, v5, 2, v6
	ds_bpermute_b32 v6, v7, v2
	ds_bpermute_b32 v7, v7, v3
	s_waitcnt lgkmcnt(0)
	s_barrier
	v_cmp_ne_u32_e64 s[0:1], 0, v6
	s_and_saveexec_b64 s[12:13], s[0:1]
; %bb.5:
	v_cmp_eq_u32_e64 s[0:1], 0, v2
	v_cmp_gt_f32_e64 s[2:3], v3, v7
	v_min_i32_e32 v8, v6, v2
	v_cmp_eq_f32_e64 s[8:9], v3, v7
	v_cndmask_b32_e64 v2, v2, v8, s[8:9]
	s_or_b64 s[0:1], s[0:1], s[2:3]
	v_cndmask_b32_e64 v2, v2, v6, s[0:1]
	v_cndmask_b32_e64 v3, v3, v7, s[0:1]
; %bb.6:
	s_or_b64 exec, exec, s[12:13]
	v_and_b32_e32 v9, 63, v5
	v_cmp_gt_u32_e64 s[0:1], 48, v9
	v_cndmask_b32_e64 v6, 0, 16, s[0:1]
	v_add_lshl_u32 v7, v6, v5, 2
	ds_bpermute_b32 v6, v7, v2
	ds_bpermute_b32 v7, v7, v3
	v_mov_b32_e32 v10, v3
	s_waitcnt lgkmcnt(1)
	v_cmp_ne_u32_e64 s[0:1], 0, v6
	s_and_saveexec_b64 s[8:9], s[0:1]
	s_cbranch_execz .LBB10_10
; %bb.7:
	v_cmp_ne_u32_e64 s[0:1], 0, v2
	s_waitcnt lgkmcnt(0)
	v_cmp_ngt_f32_e64 s[2:3], v3, v7
	s_and_b64 s[0:1], s[0:1], s[2:3]
	s_and_saveexec_b64 s[2:3], s[0:1]
; %bb.8:
	v_min_i32_e32 v6, v6, v2
	v_cmp_eq_f32_e64 s[0:1], v3, v7
	v_cndmask_b32_e64 v6, v2, v6, s[0:1]
	v_mov_b32_e32 v7, v3
; %bb.9:
	s_or_b64 exec, exec, s[2:3]
	v_mov_b32_e32 v3, v7
	v_mov_b32_e32 v2, v6
	;; [unrolled: 1-line block ×3, first 2 shown]
.LBB10_10:
	s_or_b64 exec, exec, s[8:9]
	v_cmp_gt_u32_e64 s[0:1], 56, v9
	v_cndmask_b32_e64 v6, 0, 8, s[0:1]
	v_add_lshl_u32 v6, v6, v5, 2
	s_waitcnt lgkmcnt(0)
	ds_bpermute_b32 v7, v6, v2
	ds_bpermute_b32 v8, v6, v3
	s_waitcnt lgkmcnt(1)
	v_cmp_ne_u32_e64 s[0:1], 0, v7
	s_and_saveexec_b64 s[8:9], s[0:1]
	s_cbranch_execz .LBB10_14
; %bb.11:
	v_cmp_ne_u32_e64 s[0:1], 0, v2
	s_waitcnt lgkmcnt(0)
	v_cmp_ngt_f32_e64 s[2:3], v10, v8
	s_and_b64 s[0:1], s[0:1], s[2:3]
	v_mov_b32_e32 v11, v8
	s_and_saveexec_b64 s[2:3], s[0:1]
; %bb.12:
	v_min_i32_e32 v7, v7, v2
	v_cmp_eq_f32_e64 s[0:1], v10, v8
	v_cndmask_b32_e64 v7, v2, v7, s[0:1]
	v_mov_b32_e32 v11, v10
	v_mov_b32_e32 v8, v3
; %bb.13:
	s_or_b64 exec, exec, s[2:3]
	v_mov_b32_e32 v3, v8
	v_mov_b32_e32 v2, v7
	v_mov_b32_e32 v10, v11
.LBB10_14:
	s_or_b64 exec, exec, s[8:9]
	v_cmp_gt_u32_e64 s[0:1], 60, v9
	v_cndmask_b32_e64 v7, 0, 4, s[0:1]
	v_add_lshl_u32 v7, v7, v5, 2
	s_waitcnt lgkmcnt(0)
	ds_bpermute_b32 v8, v7, v2
	ds_bpermute_b32 v11, v7, v3
	s_waitcnt lgkmcnt(1)
	v_cmp_ne_u32_e64 s[0:1], 0, v8
	s_and_saveexec_b64 s[8:9], s[0:1]
	s_cbranch_execz .LBB10_18
; %bb.15:
	v_cmp_ne_u32_e64 s[0:1], 0, v2
	s_waitcnt lgkmcnt(0)
	v_cmp_ngt_f32_e64 s[2:3], v10, v11
	s_and_b64 s[0:1], s[0:1], s[2:3]
	v_mov_b32_e32 v12, v11
	s_and_saveexec_b64 s[2:3], s[0:1]
; %bb.16:
	v_min_i32_e32 v8, v8, v2
	v_cmp_eq_f32_e64 s[0:1], v10, v11
	v_cndmask_b32_e64 v8, v2, v8, s[0:1]
	v_mov_b32_e32 v12, v10
	v_mov_b32_e32 v11, v3
; %bb.17:
	s_or_b64 exec, exec, s[2:3]
	v_mov_b32_e32 v3, v11
	v_mov_b32_e32 v2, v8
	v_mov_b32_e32 v10, v12
.LBB10_18:
	;; [unrolled: 30-line block ×3, first 2 shown]
	s_or_b64 exec, exec, s[8:9]
	v_cmp_ne_u32_e64 s[0:1], 63, v9
	v_addc_co_u32_e64 v5, s[0:1], 0, v5, s[0:1]
	v_lshlrev_b32_e32 v5, 2, v5
	ds_bpermute_b32 v9, v5, v2
	ds_bpermute_b32 v11, v5, v3
	s_waitcnt lgkmcnt(1)
	v_cmp_ne_u32_e64 s[0:1], 0, v9
	s_and_saveexec_b64 s[12:13], s[0:1]
	s_cbranch_execz .LBB10_24
; %bb.23:
	v_cmp_eq_u32_e64 s[0:1], 0, v2
	s_waitcnt lgkmcnt(0)
	v_cmp_gt_f32_e64 s[2:3], v10, v11
	v_min_i32_e32 v12, v9, v2
	v_cmp_eq_f32_e64 s[8:9], v10, v11
	v_cndmask_b32_e64 v2, v2, v12, s[8:9]
	s_or_b64 s[0:1], s[0:1], s[2:3]
	v_cndmask_b32_e64 v3, v3, v11, s[0:1]
	v_cndmask_b32_e64 v2, v2, v9, s[0:1]
.LBB10_24:
	s_or_b64 exec, exec, s[12:13]
	v_cmp_eq_u32_e64 s[0:1], 0, v1
	s_and_saveexec_b64 s[2:3], s[0:1]
; %bb.25:
	v_lshrrev_b32_e32 v1, 3, v0
	v_and_b32_e32 v1, 0x78, v1
	ds_write_b64 v1, v[2:3]
; %bb.26:
	s_or_b64 exec, exec, s[2:3]
	v_cmp_gt_u32_e64 s[0:1], 16, v0
	v_mov_b32_e32 v1, 0
	v_mov_b32_e32 v2, 0
	s_waitcnt lgkmcnt(0)
	s_barrier
	s_and_saveexec_b64 s[2:3], s[0:1]
; %bb.27:
	ds_read_b64 v[1:2], v4
; %bb.28:
	s_or_b64 exec, exec, s[2:3]
	s_and_saveexec_b64 s[8:9], vcc
	s_cbranch_execz .LBB10_42
; %bb.29:
	s_waitcnt lgkmcnt(0)
	ds_bpermute_b32 v3, v6, v1
	ds_bpermute_b32 v4, v6, v2
	s_waitcnt lgkmcnt(1)
	v_cmp_ne_u32_e32 vcc, 0, v3
	s_and_saveexec_b64 s[12:13], vcc
	s_cbranch_execz .LBB10_31
; %bb.30:
	v_cmp_eq_u32_e32 vcc, 0, v1
	s_waitcnt lgkmcnt(0)
	v_cmp_gt_f32_e64 s[0:1], v2, v4
	v_min_i32_e32 v6, v3, v1
	v_cmp_eq_f32_e64 s[2:3], v2, v4
	v_cndmask_b32_e64 v1, v1, v6, s[2:3]
	s_or_b64 vcc, vcc, s[0:1]
	v_cndmask_b32_e32 v1, v1, v3, vcc
	v_cndmask_b32_e32 v2, v2, v4, vcc
.LBB10_31:
	s_or_b64 exec, exec, s[12:13]
	s_waitcnt lgkmcnt(0)
	ds_bpermute_b32 v4, v7, v1
	ds_bpermute_b32 v6, v7, v2
	v_mov_b32_e32 v3, v2
	s_waitcnt lgkmcnt(1)
	v_cmp_ne_u32_e32 vcc, 0, v4
	s_and_saveexec_b64 s[2:3], vcc
	s_cbranch_execz .LBB10_35
; %bb.32:
	v_cmp_ne_u32_e32 vcc, 0, v1
	s_waitcnt lgkmcnt(0)
	v_cmp_ngt_f32_e64 s[0:1], v2, v6
	s_and_b64 s[12:13], vcc, s[0:1]
	s_and_saveexec_b64 s[0:1], s[12:13]
; %bb.33:
	v_min_i32_e32 v3, v4, v1
	v_cmp_eq_f32_e32 vcc, v2, v6
	v_cndmask_b32_e32 v4, v1, v3, vcc
	v_mov_b32_e32 v6, v2
; %bb.34:
	s_or_b64 exec, exec, s[0:1]
	v_mov_b32_e32 v2, v6
	v_mov_b32_e32 v1, v4
	;; [unrolled: 1-line block ×3, first 2 shown]
.LBB10_35:
	s_or_b64 exec, exec, s[2:3]
	ds_bpermute_b32 v4, v8, v1
	s_waitcnt lgkmcnt(1)
	ds_bpermute_b32 v6, v8, v2
	s_waitcnt lgkmcnt(1)
	v_cmp_ne_u32_e32 vcc, 0, v4
	s_and_saveexec_b64 s[2:3], vcc
	s_cbranch_execz .LBB10_39
; %bb.36:
	v_cmp_ne_u32_e32 vcc, 0, v1
	s_waitcnt lgkmcnt(0)
	v_cmp_ngt_f32_e64 s[0:1], v3, v6
	s_and_b64 s[12:13], vcc, s[0:1]
	v_mov_b32_e32 v7, v6
	s_and_saveexec_b64 s[0:1], s[12:13]
; %bb.37:
	v_min_i32_e32 v4, v4, v1
	v_cmp_eq_f32_e32 vcc, v3, v6
	v_cndmask_b32_e32 v4, v1, v4, vcc
	v_mov_b32_e32 v7, v3
	v_mov_b32_e32 v6, v2
; %bb.38:
	s_or_b64 exec, exec, s[0:1]
	v_mov_b32_e32 v2, v6
	v_mov_b32_e32 v1, v4
	;; [unrolled: 1-line block ×3, first 2 shown]
.LBB10_39:
	s_or_b64 exec, exec, s[2:3]
	ds_bpermute_b32 v4, v5, v1
	ds_bpermute_b32 v5, v5, v2
	s_waitcnt lgkmcnt(1)
	v_cmp_ne_u32_e32 vcc, 0, v4
	s_and_saveexec_b64 s[12:13], vcc
	s_cbranch_execz .LBB10_41
; %bb.40:
	v_cmp_eq_u32_e32 vcc, 0, v1
	s_waitcnt lgkmcnt(0)
	v_cmp_gt_f32_e64 s[0:1], v3, v5
	v_min_i32_e32 v6, v4, v1
	v_cmp_eq_f32_e64 s[2:3], v3, v5
	v_cndmask_b32_e64 v1, v1, v6, s[2:3]
	s_or_b64 vcc, vcc, s[0:1]
	v_cndmask_b32_e32 v2, v2, v5, vcc
	v_cndmask_b32_e32 v1, v1, v4, vcc
.LBB10_41:
	s_or_b64 exec, exec, s[12:13]
.LBB10_42:
	s_or_b64 exec, exec, s[8:9]
	s_mov_b32 s1, 0
	v_cmp_eq_u32_e32 vcc, 0, v0
	s_and_saveexec_b64 s[2:3], vcc
	s_cbranch_execz .LBB10_44
; %bb.43:
	s_load_dwordx2 s[2:3], s[4:5], 0x30
	s_mul_i32 s0, s11, s7
	s_add_i32 s0, s0, s6
	s_lshl_b64 s[0:1], s[0:1], 3
	v_mov_b32_e32 v0, 0
	s_waitcnt lgkmcnt(0)
	s_add_u32 s0, s2, s0
	s_addc_u32 s1, s3, s1
	global_store_dwordx2 v0, v[1:2], s[0:1]
.LBB10_44:
	s_endpgm
	.section	.rodata,"a",@progbits
	.p2align	6, 0x0
	.amdhsa_kernel _ZL32rocblas_iamax_iamin_kernel_part1ILi1024E23rocblas_fetch_amax_aminIfE19rocblas_reduce_aminPKf21rocblas_index_value_tIfEEviiT2_liliPT3_
		.amdhsa_group_segment_fixed_size 512
		.amdhsa_private_segment_fixed_size 0
		.amdhsa_kernarg_size 56
		.amdhsa_user_sgpr_count 6
		.amdhsa_user_sgpr_private_segment_buffer 1
		.amdhsa_user_sgpr_dispatch_ptr 0
		.amdhsa_user_sgpr_queue_ptr 0
		.amdhsa_user_sgpr_kernarg_segment_ptr 1
		.amdhsa_user_sgpr_dispatch_id 0
		.amdhsa_user_sgpr_flat_scratch_init 0
		.amdhsa_user_sgpr_private_segment_size 0
		.amdhsa_uses_dynamic_stack 0
		.amdhsa_system_sgpr_private_segment_wavefront_offset 0
		.amdhsa_system_sgpr_workgroup_id_x 1
		.amdhsa_system_sgpr_workgroup_id_y 0
		.amdhsa_system_sgpr_workgroup_id_z 1
		.amdhsa_system_sgpr_workgroup_info 0
		.amdhsa_system_vgpr_workitem_id 0
		.amdhsa_next_free_vgpr 14
		.amdhsa_next_free_sgpr 16
		.amdhsa_reserve_vcc 1
		.amdhsa_reserve_flat_scratch 0
		.amdhsa_float_round_mode_32 0
		.amdhsa_float_round_mode_16_64 0
		.amdhsa_float_denorm_mode_32 3
		.amdhsa_float_denorm_mode_16_64 3
		.amdhsa_dx10_clamp 1
		.amdhsa_ieee_mode 1
		.amdhsa_fp16_overflow 0
		.amdhsa_exception_fp_ieee_invalid_op 0
		.amdhsa_exception_fp_denorm_src 0
		.amdhsa_exception_fp_ieee_div_zero 0
		.amdhsa_exception_fp_ieee_overflow 0
		.amdhsa_exception_fp_ieee_underflow 0
		.amdhsa_exception_fp_ieee_inexact 0
		.amdhsa_exception_int_div_zero 0
	.end_amdhsa_kernel
	.section	.text._ZL32rocblas_iamax_iamin_kernel_part1ILi1024E23rocblas_fetch_amax_aminIfE19rocblas_reduce_aminPKf21rocblas_index_value_tIfEEviiT2_liliPT3_,"axG",@progbits,_ZL32rocblas_iamax_iamin_kernel_part1ILi1024E23rocblas_fetch_amax_aminIfE19rocblas_reduce_aminPKf21rocblas_index_value_tIfEEviiT2_liliPT3_,comdat
.Lfunc_end10:
	.size	_ZL32rocblas_iamax_iamin_kernel_part1ILi1024E23rocblas_fetch_amax_aminIfE19rocblas_reduce_aminPKf21rocblas_index_value_tIfEEviiT2_liliPT3_, .Lfunc_end10-_ZL32rocblas_iamax_iamin_kernel_part1ILi1024E23rocblas_fetch_amax_aminIfE19rocblas_reduce_aminPKf21rocblas_index_value_tIfEEviiT2_liliPT3_
                                        ; -- End function
	.set _ZL32rocblas_iamax_iamin_kernel_part1ILi1024E23rocblas_fetch_amax_aminIfE19rocblas_reduce_aminPKf21rocblas_index_value_tIfEEviiT2_liliPT3_.num_vgpr, 14
	.set _ZL32rocblas_iamax_iamin_kernel_part1ILi1024E23rocblas_fetch_amax_aminIfE19rocblas_reduce_aminPKf21rocblas_index_value_tIfEEviiT2_liliPT3_.num_agpr, 0
	.set _ZL32rocblas_iamax_iamin_kernel_part1ILi1024E23rocblas_fetch_amax_aminIfE19rocblas_reduce_aminPKf21rocblas_index_value_tIfEEviiT2_liliPT3_.numbered_sgpr, 16
	.set _ZL32rocblas_iamax_iamin_kernel_part1ILi1024E23rocblas_fetch_amax_aminIfE19rocblas_reduce_aminPKf21rocblas_index_value_tIfEEviiT2_liliPT3_.num_named_barrier, 0
	.set _ZL32rocblas_iamax_iamin_kernel_part1ILi1024E23rocblas_fetch_amax_aminIfE19rocblas_reduce_aminPKf21rocblas_index_value_tIfEEviiT2_liliPT3_.private_seg_size, 0
	.set _ZL32rocblas_iamax_iamin_kernel_part1ILi1024E23rocblas_fetch_amax_aminIfE19rocblas_reduce_aminPKf21rocblas_index_value_tIfEEviiT2_liliPT3_.uses_vcc, 1
	.set _ZL32rocblas_iamax_iamin_kernel_part1ILi1024E23rocblas_fetch_amax_aminIfE19rocblas_reduce_aminPKf21rocblas_index_value_tIfEEviiT2_liliPT3_.uses_flat_scratch, 0
	.set _ZL32rocblas_iamax_iamin_kernel_part1ILi1024E23rocblas_fetch_amax_aminIfE19rocblas_reduce_aminPKf21rocblas_index_value_tIfEEviiT2_liliPT3_.has_dyn_sized_stack, 0
	.set _ZL32rocblas_iamax_iamin_kernel_part1ILi1024E23rocblas_fetch_amax_aminIfE19rocblas_reduce_aminPKf21rocblas_index_value_tIfEEviiT2_liliPT3_.has_recursion, 0
	.set _ZL32rocblas_iamax_iamin_kernel_part1ILi1024E23rocblas_fetch_amax_aminIfE19rocblas_reduce_aminPKf21rocblas_index_value_tIfEEviiT2_liliPT3_.has_indirect_call, 0
	.section	.AMDGPU.csdata,"",@progbits
; Kernel info:
; codeLenInByte = 1568
; TotalNumSgprs: 20
; NumVgprs: 14
; ScratchSize: 0
; MemoryBound: 0
; FloatMode: 240
; IeeeMode: 1
; LDSByteSize: 512 bytes/workgroup (compile time only)
; SGPRBlocks: 2
; VGPRBlocks: 3
; NumSGPRsForWavesPerEU: 20
; NumVGPRsForWavesPerEU: 14
; Occupancy: 10
; WaveLimiterHint : 0
; COMPUTE_PGM_RSRC2:SCRATCH_EN: 0
; COMPUTE_PGM_RSRC2:USER_SGPR: 6
; COMPUTE_PGM_RSRC2:TRAP_HANDLER: 0
; COMPUTE_PGM_RSRC2:TGID_X_EN: 1
; COMPUTE_PGM_RSRC2:TGID_Y_EN: 0
; COMPUTE_PGM_RSRC2:TGID_Z_EN: 1
; COMPUTE_PGM_RSRC2:TIDIG_COMP_CNT: 0
	.section	.text._ZL32rocblas_iamax_iamin_kernel_part2ILi1024E19rocblas_reduce_amin21rocblas_index_value_tIfEiEviPT1_PT2_,"axG",@progbits,_ZL32rocblas_iamax_iamin_kernel_part2ILi1024E19rocblas_reduce_amin21rocblas_index_value_tIfEiEviPT1_PT2_,comdat
	.globl	_ZL32rocblas_iamax_iamin_kernel_part2ILi1024E19rocblas_reduce_amin21rocblas_index_value_tIfEiEviPT1_PT2_ ; -- Begin function _ZL32rocblas_iamax_iamin_kernel_part2ILi1024E19rocblas_reduce_amin21rocblas_index_value_tIfEiEviPT1_PT2_
	.p2align	8
	.type	_ZL32rocblas_iamax_iamin_kernel_part2ILi1024E19rocblas_reduce_amin21rocblas_index_value_tIfEiEviPT1_PT2_,@function
_ZL32rocblas_iamax_iamin_kernel_part2ILi1024E19rocblas_reduce_amin21rocblas_index_value_tIfEiEviPT1_PT2_: ; @_ZL32rocblas_iamax_iamin_kernel_part2ILi1024E19rocblas_reduce_amin21rocblas_index_value_tIfEiEviPT1_PT2_
; %bb.0:
	s_load_dword s7, s[4:5], 0x0
	s_load_dwordx4 s[8:11], s[4:5], 0x8
	v_mov_b32_e32 v1, 0
	s_waitcnt lgkmcnt(0)
	v_cmp_gt_i32_e32 vcc, s7, v0
	s_and_saveexec_b64 s[2:3], vcc
	s_cbranch_execz .LBB11_10
; %bb.1:
	s_mul_i32 s0, s7, s6
	s_mov_b32 s1, 0
	s_lshl_b64 s[0:1], s[0:1], 3
	s_add_u32 s4, s8, s0
	s_addc_u32 s5, s9, s1
	v_lshlrev_b32_e32 v3, 3, v0
	global_load_dwordx2 v[1:2], v3, s[4:5]
	v_or_b32_e32 v5, 0x400, v0
	v_cmp_gt_u32_e32 vcc, s7, v5
	s_and_saveexec_b64 s[4:5], vcc
	s_cbranch_execz .LBB11_9
; %bb.2:
	s_add_u32 s0, s8, s0
	s_addc_u32 s1, s9, s1
	v_mov_b32_e32 v4, s1
	v_add_co_u32_e32 v3, vcc, s0, v3
	v_addc_co_u32_e32 v4, vcc, 0, v4, vcc
	v_add_co_u32_e32 v3, vcc, 0x2004, v3
	v_addc_co_u32_e32 v4, vcc, 0, v4, vcc
	s_mov_b64 s[8:9], 0
	s_branch .LBB11_5
.LBB11_3:                               ;   in Loop: Header=BB11_5 Depth=1
	s_or_b64 exec, exec, s[0:1]
	v_mov_b32_e32 v1, v6
	v_mov_b32_e32 v2, v7
.LBB11_4:                               ;   in Loop: Header=BB11_5 Depth=1
	s_or_b64 exec, exec, s[12:13]
	v_add_u32_e32 v5, 0x400, v5
	v_add_co_u32_e32 v3, vcc, 0x2000, v3
	v_cmp_le_i32_e64 s[0:1], s7, v5
	s_or_b64 s[8:9], s[0:1], s[8:9]
	v_addc_co_u32_e32 v4, vcc, 0, v4, vcc
	s_andn2_b64 exec, exec, s[8:9]
	s_cbranch_execz .LBB11_8
.LBB11_5:                               ; =>This Inner Loop Header: Depth=1
	global_load_dword v6, v[3:4], off offset:-4
	s_waitcnt vmcnt(0)
	v_cmp_ne_u32_e32 vcc, 0, v6
	s_and_saveexec_b64 s[12:13], vcc
	s_cbranch_execz .LBB11_4
; %bb.6:                                ;   in Loop: Header=BB11_5 Depth=1
	global_load_dword v7, v[3:4], off
	v_cmp_ne_u32_e32 vcc, 0, v1
	s_waitcnt vmcnt(0)
	v_cmp_nlt_f32_e64 s[0:1], v7, v2
	s_and_b64 s[14:15], vcc, s[0:1]
	s_and_saveexec_b64 s[0:1], s[14:15]
	s_cbranch_execz .LBB11_3
; %bb.7:                                ;   in Loop: Header=BB11_5 Depth=1
	v_min_i32_e32 v6, v6, v1
	v_cmp_eq_f32_e32 vcc, v2, v7
	v_cndmask_b32_e32 v6, v1, v6, vcc
	v_mov_b32_e32 v7, v2
	s_branch .LBB11_3
.LBB11_8:
	s_or_b64 exec, exec, s[8:9]
.LBB11_9:
	s_or_b64 exec, exec, s[4:5]
.LBB11_10:
	s_or_b64 exec, exec, s[2:3]
	v_and_b32_e32 v4, 63, v0
	v_cmp_gt_u32_e32 vcc, 64, v0
	v_lshlrev_b32_e32 v3, 3, v4
	s_and_saveexec_b64 s[0:1], vcc
; %bb.11:
	v_mov_b32_e32 v5, 0
	v_mov_b32_e32 v6, v5
	ds_write_b64 v3, v[5:6]
; %bb.12:
	s_or_b64 exec, exec, s[0:1]
	v_mbcnt_lo_u32_b32 v5, -1, 0
	v_mbcnt_hi_u32_b32 v5, -1, v5
	v_mov_b32_e32 v6, 0x80
	v_lshl_or_b32 v7, v5, 2, v6
	s_waitcnt vmcnt(0)
	ds_bpermute_b32 v6, v7, v1
	ds_bpermute_b32 v7, v7, v2
	v_mov_b32_e32 v10, v2
	s_waitcnt lgkmcnt(0)
	s_barrier
	v_cmp_ne_u32_e64 s[0:1], 0, v6
	s_and_saveexec_b64 s[8:9], s[0:1]
; %bb.13:
	v_cmp_eq_u32_e64 s[0:1], 0, v1
	v_cmp_gt_f32_e64 s[2:3], v2, v7
	v_min_i32_e32 v8, v6, v1
	v_cmp_eq_f32_e64 s[4:5], v2, v7
	s_or_b64 s[0:1], s[0:1], s[2:3]
	v_cndmask_b32_e64 v1, v1, v8, s[4:5]
	v_cndmask_b32_e64 v2, v2, v7, s[0:1]
	;; [unrolled: 1-line block ×3, first 2 shown]
	v_mov_b32_e32 v10, v2
; %bb.14:
	s_or_b64 exec, exec, s[8:9]
	v_and_b32_e32 v9, 63, v5
	v_cmp_gt_u32_e64 s[0:1], 48, v9
	v_cndmask_b32_e64 v6, 0, 16, s[0:1]
	v_add_lshl_u32 v7, v6, v5, 2
	ds_bpermute_b32 v6, v7, v1
	ds_bpermute_b32 v7, v7, v2
	s_waitcnt lgkmcnt(1)
	v_cmp_ne_u32_e64 s[0:1], 0, v6
	s_and_saveexec_b64 s[4:5], s[0:1]
	s_cbranch_execz .LBB11_18
; %bb.15:
	v_cmp_ne_u32_e64 s[0:1], 0, v1
	s_waitcnt lgkmcnt(0)
	v_cmp_ngt_f32_e64 s[2:3], v10, v7
	s_and_b64 s[0:1], s[0:1], s[2:3]
	v_mov_b32_e32 v8, v7
	s_and_saveexec_b64 s[2:3], s[0:1]
; %bb.16:
	v_min_i32_e32 v6, v6, v1
	v_cmp_eq_f32_e64 s[0:1], v10, v7
	v_cndmask_b32_e64 v6, v1, v6, s[0:1]
	v_mov_b32_e32 v8, v10
	v_mov_b32_e32 v7, v2
; %bb.17:
	s_or_b64 exec, exec, s[2:3]
	v_mov_b32_e32 v2, v7
	v_mov_b32_e32 v1, v6
	v_mov_b32_e32 v10, v8
.LBB11_18:
	s_or_b64 exec, exec, s[4:5]
	v_cmp_gt_u32_e64 s[0:1], 56, v9
	v_cndmask_b32_e64 v6, 0, 8, s[0:1]
	v_add_lshl_u32 v6, v6, v5, 2
	s_waitcnt lgkmcnt(0)
	ds_bpermute_b32 v7, v6, v1
	ds_bpermute_b32 v8, v6, v2
	s_waitcnt lgkmcnt(1)
	v_cmp_ne_u32_e64 s[0:1], 0, v7
	s_and_saveexec_b64 s[4:5], s[0:1]
	s_cbranch_execz .LBB11_22
; %bb.19:
	v_cmp_ne_u32_e64 s[0:1], 0, v1
	s_waitcnt lgkmcnt(0)
	v_cmp_ngt_f32_e64 s[2:3], v10, v8
	s_and_b64 s[0:1], s[0:1], s[2:3]
	v_mov_b32_e32 v11, v8
	s_and_saveexec_b64 s[2:3], s[0:1]
; %bb.20:
	v_min_i32_e32 v7, v7, v1
	v_cmp_eq_f32_e64 s[0:1], v10, v8
	v_cndmask_b32_e64 v7, v1, v7, s[0:1]
	v_mov_b32_e32 v11, v10
	v_mov_b32_e32 v8, v2
; %bb.21:
	s_or_b64 exec, exec, s[2:3]
	v_mov_b32_e32 v2, v8
	v_mov_b32_e32 v1, v7
	v_mov_b32_e32 v10, v11
.LBB11_22:
	s_or_b64 exec, exec, s[4:5]
	v_cmp_gt_u32_e64 s[0:1], 60, v9
	v_cndmask_b32_e64 v7, 0, 4, s[0:1]
	v_add_lshl_u32 v7, v7, v5, 2
	s_waitcnt lgkmcnt(0)
	;; [unrolled: 30-line block ×3, first 2 shown]
	ds_bpermute_b32 v11, v8, v1
	ds_bpermute_b32 v12, v8, v2
	s_waitcnt lgkmcnt(1)
	v_cmp_ne_u32_e64 s[0:1], 0, v11
	s_and_saveexec_b64 s[4:5], s[0:1]
	s_cbranch_execz .LBB11_30
; %bb.27:
	v_cmp_ne_u32_e64 s[0:1], 0, v1
	s_waitcnt lgkmcnt(0)
	v_cmp_ngt_f32_e64 s[2:3], v10, v12
	s_and_b64 s[0:1], s[0:1], s[2:3]
	v_mov_b32_e32 v13, v12
	s_and_saveexec_b64 s[2:3], s[0:1]
; %bb.28:
	v_min_i32_e32 v11, v11, v1
	v_cmp_eq_f32_e64 s[0:1], v10, v12
	v_cndmask_b32_e64 v11, v1, v11, s[0:1]
	v_mov_b32_e32 v13, v10
	v_mov_b32_e32 v12, v2
; %bb.29:
	s_or_b64 exec, exec, s[2:3]
	v_mov_b32_e32 v2, v12
	v_mov_b32_e32 v1, v11
	;; [unrolled: 1-line block ×3, first 2 shown]
.LBB11_30:
	s_or_b64 exec, exec, s[4:5]
	v_cmp_ne_u32_e64 s[0:1], 63, v9
	v_addc_co_u32_e64 v5, s[0:1], 0, v5, s[0:1]
	v_lshlrev_b32_e32 v5, 2, v5
	ds_bpermute_b32 v9, v5, v1
	ds_bpermute_b32 v11, v5, v2
	s_waitcnt lgkmcnt(1)
	v_cmp_ne_u32_e64 s[0:1], 0, v9
	s_and_saveexec_b64 s[8:9], s[0:1]
	s_cbranch_execz .LBB11_32
; %bb.31:
	v_cmp_eq_u32_e64 s[0:1], 0, v1
	s_waitcnt lgkmcnt(0)
	v_cmp_gt_f32_e64 s[2:3], v10, v11
	v_min_i32_e32 v12, v9, v1
	v_cmp_eq_f32_e64 s[4:5], v10, v11
	v_cndmask_b32_e64 v1, v1, v12, s[4:5]
	s_or_b64 s[0:1], s[0:1], s[2:3]
	v_cndmask_b32_e64 v2, v2, v11, s[0:1]
	v_cndmask_b32_e64 v1, v1, v9, s[0:1]
.LBB11_32:
	s_or_b64 exec, exec, s[8:9]
	v_cmp_eq_u32_e64 s[0:1], 0, v4
	s_and_saveexec_b64 s[2:3], s[0:1]
; %bb.33:
	v_lshrrev_b32_e32 v4, 3, v0
	v_and_b32_e32 v4, 0x78, v4
	ds_write_b64 v4, v[1:2]
; %bb.34:
	s_or_b64 exec, exec, s[2:3]
	v_cmp_gt_u32_e64 s[0:1], 16, v0
	v_mov_b32_e32 v1, 0
	v_mov_b32_e32 v2, 0
	s_waitcnt lgkmcnt(0)
	s_barrier
	s_and_saveexec_b64 s[2:3], s[0:1]
; %bb.35:
	ds_read_b64 v[1:2], v3
; %bb.36:
	s_or_b64 exec, exec, s[2:3]
	s_and_saveexec_b64 s[4:5], vcc
	s_cbranch_execz .LBB11_50
; %bb.37:
	s_waitcnt lgkmcnt(0)
	ds_bpermute_b32 v3, v6, v1
	ds_bpermute_b32 v4, v6, v2
	s_waitcnt lgkmcnt(1)
	v_cmp_ne_u32_e32 vcc, 0, v3
	s_and_saveexec_b64 s[8:9], vcc
	s_cbranch_execz .LBB11_39
; %bb.38:
	v_cmp_eq_u32_e32 vcc, 0, v1
	s_waitcnt lgkmcnt(0)
	v_cmp_gt_f32_e64 s[0:1], v2, v4
	v_min_i32_e32 v6, v3, v1
	v_cmp_eq_f32_e64 s[2:3], v2, v4
	v_cndmask_b32_e64 v1, v1, v6, s[2:3]
	s_or_b64 vcc, vcc, s[0:1]
	v_cndmask_b32_e32 v1, v1, v3, vcc
	v_cndmask_b32_e32 v2, v2, v4, vcc
.LBB11_39:
	s_or_b64 exec, exec, s[8:9]
	s_waitcnt lgkmcnt(0)
	ds_bpermute_b32 v4, v7, v1
	ds_bpermute_b32 v6, v7, v2
	v_mov_b32_e32 v3, v2
	s_waitcnt lgkmcnt(1)
	v_cmp_ne_u32_e32 vcc, 0, v4
	s_and_saveexec_b64 s[2:3], vcc
	s_cbranch_execz .LBB11_43
; %bb.40:
	v_cmp_ne_u32_e32 vcc, 0, v1
	s_waitcnt lgkmcnt(0)
	v_cmp_ngt_f32_e64 s[0:1], v2, v6
	s_and_b64 s[8:9], vcc, s[0:1]
	s_and_saveexec_b64 s[0:1], s[8:9]
; %bb.41:
	v_min_i32_e32 v3, v4, v1
	v_cmp_eq_f32_e32 vcc, v2, v6
	v_cndmask_b32_e32 v4, v1, v3, vcc
	v_mov_b32_e32 v6, v2
; %bb.42:
	s_or_b64 exec, exec, s[0:1]
	v_mov_b32_e32 v2, v6
	v_mov_b32_e32 v1, v4
	v_mov_b32_e32 v3, v6
.LBB11_43:
	s_or_b64 exec, exec, s[2:3]
	ds_bpermute_b32 v4, v8, v1
	s_waitcnt lgkmcnt(1)
	ds_bpermute_b32 v6, v8, v2
	s_waitcnt lgkmcnt(1)
	v_cmp_ne_u32_e32 vcc, 0, v4
	s_and_saveexec_b64 s[2:3], vcc
	s_cbranch_execz .LBB11_47
; %bb.44:
	v_cmp_ne_u32_e32 vcc, 0, v1
	s_waitcnt lgkmcnt(0)
	v_cmp_ngt_f32_e64 s[0:1], v3, v6
	s_and_b64 s[8:9], vcc, s[0:1]
	v_mov_b32_e32 v7, v6
	s_and_saveexec_b64 s[0:1], s[8:9]
; %bb.45:
	v_min_i32_e32 v4, v4, v1
	v_cmp_eq_f32_e32 vcc, v3, v6
	v_cndmask_b32_e32 v4, v1, v4, vcc
	v_mov_b32_e32 v7, v3
	v_mov_b32_e32 v6, v2
; %bb.46:
	s_or_b64 exec, exec, s[0:1]
	v_mov_b32_e32 v2, v6
	v_mov_b32_e32 v1, v4
	;; [unrolled: 1-line block ×3, first 2 shown]
.LBB11_47:
	s_or_b64 exec, exec, s[2:3]
	ds_bpermute_b32 v4, v5, v1
	ds_bpermute_b32 v2, v5, v2
	s_waitcnt lgkmcnt(1)
	v_cmp_ne_u32_e32 vcc, 0, v4
	s_and_saveexec_b64 s[8:9], vcc
	s_cbranch_execz .LBB11_49
; %bb.48:
	v_cmp_eq_u32_e32 vcc, 0, v1
	s_waitcnt lgkmcnt(0)
	v_cmp_gt_f32_e64 s[0:1], v3, v2
	v_min_i32_e32 v5, v4, v1
	v_cmp_eq_f32_e64 s[2:3], v3, v2
	v_cndmask_b32_e64 v1, v1, v5, s[2:3]
	s_or_b64 vcc, vcc, s[0:1]
	v_cndmask_b32_e32 v1, v1, v4, vcc
.LBB11_49:
	s_or_b64 exec, exec, s[8:9]
.LBB11_50:
	s_or_b64 exec, exec, s[4:5]
	s_mov_b32 s7, 0
	v_cmp_eq_u32_e32 vcc, 0, v0
	s_and_saveexec_b64 s[0:1], vcc
	s_cbranch_execz .LBB11_52
; %bb.51:
	s_lshl_b64 s[0:1], s[6:7], 2
	s_add_u32 s0, s10, s0
	s_addc_u32 s1, s11, s1
	v_mov_b32_e32 v0, 0
	s_waitcnt lgkmcnt(0)
	global_store_dword v0, v1, s[0:1]
.LBB11_52:
	s_endpgm
	.section	.rodata,"a",@progbits
	.p2align	6, 0x0
	.amdhsa_kernel _ZL32rocblas_iamax_iamin_kernel_part2ILi1024E19rocblas_reduce_amin21rocblas_index_value_tIfEiEviPT1_PT2_
		.amdhsa_group_segment_fixed_size 512
		.amdhsa_private_segment_fixed_size 0
		.amdhsa_kernarg_size 24
		.amdhsa_user_sgpr_count 6
		.amdhsa_user_sgpr_private_segment_buffer 1
		.amdhsa_user_sgpr_dispatch_ptr 0
		.amdhsa_user_sgpr_queue_ptr 0
		.amdhsa_user_sgpr_kernarg_segment_ptr 1
		.amdhsa_user_sgpr_dispatch_id 0
		.amdhsa_user_sgpr_flat_scratch_init 0
		.amdhsa_user_sgpr_private_segment_size 0
		.amdhsa_uses_dynamic_stack 0
		.amdhsa_system_sgpr_private_segment_wavefront_offset 0
		.amdhsa_system_sgpr_workgroup_id_x 1
		.amdhsa_system_sgpr_workgroup_id_y 0
		.amdhsa_system_sgpr_workgroup_id_z 0
		.amdhsa_system_sgpr_workgroup_info 0
		.amdhsa_system_vgpr_workitem_id 0
		.amdhsa_next_free_vgpr 14
		.amdhsa_next_free_sgpr 16
		.amdhsa_reserve_vcc 1
		.amdhsa_reserve_flat_scratch 0
		.amdhsa_float_round_mode_32 0
		.amdhsa_float_round_mode_16_64 0
		.amdhsa_float_denorm_mode_32 3
		.amdhsa_float_denorm_mode_16_64 3
		.amdhsa_dx10_clamp 1
		.amdhsa_ieee_mode 1
		.amdhsa_fp16_overflow 0
		.amdhsa_exception_fp_ieee_invalid_op 0
		.amdhsa_exception_fp_denorm_src 0
		.amdhsa_exception_fp_ieee_div_zero 0
		.amdhsa_exception_fp_ieee_overflow 0
		.amdhsa_exception_fp_ieee_underflow 0
		.amdhsa_exception_fp_ieee_inexact 0
		.amdhsa_exception_int_div_zero 0
	.end_amdhsa_kernel
	.section	.text._ZL32rocblas_iamax_iamin_kernel_part2ILi1024E19rocblas_reduce_amin21rocblas_index_value_tIfEiEviPT1_PT2_,"axG",@progbits,_ZL32rocblas_iamax_iamin_kernel_part2ILi1024E19rocblas_reduce_amin21rocblas_index_value_tIfEiEviPT1_PT2_,comdat
.Lfunc_end11:
	.size	_ZL32rocblas_iamax_iamin_kernel_part2ILi1024E19rocblas_reduce_amin21rocblas_index_value_tIfEiEviPT1_PT2_, .Lfunc_end11-_ZL32rocblas_iamax_iamin_kernel_part2ILi1024E19rocblas_reduce_amin21rocblas_index_value_tIfEiEviPT1_PT2_
                                        ; -- End function
	.set _ZL32rocblas_iamax_iamin_kernel_part2ILi1024E19rocblas_reduce_amin21rocblas_index_value_tIfEiEviPT1_PT2_.num_vgpr, 14
	.set _ZL32rocblas_iamax_iamin_kernel_part2ILi1024E19rocblas_reduce_amin21rocblas_index_value_tIfEiEviPT1_PT2_.num_agpr, 0
	.set _ZL32rocblas_iamax_iamin_kernel_part2ILi1024E19rocblas_reduce_amin21rocblas_index_value_tIfEiEviPT1_PT2_.numbered_sgpr, 16
	.set _ZL32rocblas_iamax_iamin_kernel_part2ILi1024E19rocblas_reduce_amin21rocblas_index_value_tIfEiEviPT1_PT2_.num_named_barrier, 0
	.set _ZL32rocblas_iamax_iamin_kernel_part2ILi1024E19rocblas_reduce_amin21rocblas_index_value_tIfEiEviPT1_PT2_.private_seg_size, 0
	.set _ZL32rocblas_iamax_iamin_kernel_part2ILi1024E19rocblas_reduce_amin21rocblas_index_value_tIfEiEviPT1_PT2_.uses_vcc, 1
	.set _ZL32rocblas_iamax_iamin_kernel_part2ILi1024E19rocblas_reduce_amin21rocblas_index_value_tIfEiEviPT1_PT2_.uses_flat_scratch, 0
	.set _ZL32rocblas_iamax_iamin_kernel_part2ILi1024E19rocblas_reduce_amin21rocblas_index_value_tIfEiEviPT1_PT2_.has_dyn_sized_stack, 0
	.set _ZL32rocblas_iamax_iamin_kernel_part2ILi1024E19rocblas_reduce_amin21rocblas_index_value_tIfEiEviPT1_PT2_.has_recursion, 0
	.set _ZL32rocblas_iamax_iamin_kernel_part2ILi1024E19rocblas_reduce_amin21rocblas_index_value_tIfEiEviPT1_PT2_.has_indirect_call, 0
	.section	.AMDGPU.csdata,"",@progbits
; Kernel info:
; codeLenInByte = 1656
; TotalNumSgprs: 20
; NumVgprs: 14
; ScratchSize: 0
; MemoryBound: 0
; FloatMode: 240
; IeeeMode: 1
; LDSByteSize: 512 bytes/workgroup (compile time only)
; SGPRBlocks: 2
; VGPRBlocks: 3
; NumSGPRsForWavesPerEU: 20
; NumVGPRsForWavesPerEU: 14
; Occupancy: 10
; WaveLimiterHint : 0
; COMPUTE_PGM_RSRC2:SCRATCH_EN: 0
; COMPUTE_PGM_RSRC2:USER_SGPR: 6
; COMPUTE_PGM_RSRC2:TRAP_HANDLER: 0
; COMPUTE_PGM_RSRC2:TGID_X_EN: 1
; COMPUTE_PGM_RSRC2:TGID_Y_EN: 0
; COMPUTE_PGM_RSRC2:TGID_Z_EN: 0
; COMPUTE_PGM_RSRC2:TIDIG_COMP_CNT: 0
	.section	.text._ZL32rocblas_iamax_iamin_kernel_part1ILi1024E23rocblas_fetch_amax_aminIdE19rocblas_reduce_aminPKd21rocblas_index_value_tIdEEviiT2_liliPT3_,"axG",@progbits,_ZL32rocblas_iamax_iamin_kernel_part1ILi1024E23rocblas_fetch_amax_aminIdE19rocblas_reduce_aminPKd21rocblas_index_value_tIdEEviiT2_liliPT3_,comdat
	.globl	_ZL32rocblas_iamax_iamin_kernel_part1ILi1024E23rocblas_fetch_amax_aminIdE19rocblas_reduce_aminPKd21rocblas_index_value_tIdEEviiT2_liliPT3_ ; -- Begin function _ZL32rocblas_iamax_iamin_kernel_part1ILi1024E23rocblas_fetch_amax_aminIdE19rocblas_reduce_aminPKd21rocblas_index_value_tIdEEviiT2_liliPT3_
	.p2align	8
	.type	_ZL32rocblas_iamax_iamin_kernel_part1ILi1024E23rocblas_fetch_amax_aminIdE19rocblas_reduce_aminPKd21rocblas_index_value_tIdEEviiT2_liliPT3_,@function
_ZL32rocblas_iamax_iamin_kernel_part1ILi1024E23rocblas_fetch_amax_aminIdE19rocblas_reduce_aminPKd21rocblas_index_value_tIdEEviiT2_liliPT3_: ; @_ZL32rocblas_iamax_iamin_kernel_part1ILi1024E23rocblas_fetch_amax_aminIdE19rocblas_reduce_aminPKd21rocblas_index_value_tIdEEviiT2_liliPT3_
; %bb.0:
	s_load_dwordx2 s[10:11], s[4:5], 0x0
	v_lshl_or_b32 v1, s6, 10, v0
	v_mov_b32_e32 v2, 0
                                        ; implicit-def: $vgpr3_vgpr4
	s_waitcnt lgkmcnt(0)
	s_ashr_i32 s1, s10, 31
	s_mov_b32 s0, s10
	v_cmp_gt_i64_e32 vcc, s[0:1], v[1:2]
	s_and_saveexec_b64 s[0:1], vcc
	s_cbranch_execz .LBB12_2
; %bb.1:
	s_load_dword s8, s[4:5], 0x18
	s_load_dwordx2 s[2:3], s[4:5], 0x20
	s_load_dwordx4 s[12:15], s[4:5], 0x8
	s_waitcnt lgkmcnt(0)
	s_ashr_i32 s10, s8, 31
	s_mul_i32 s3, s3, s7
	s_mul_hi_u32 s9, s2, s7
	s_add_i32 s3, s9, s3
	v_mad_u64_u32 v[2:3], s[8:9], s8, v1, 0
	s_mul_i32 s2, s2, s7
	s_lshl_b64 s[2:3], s[2:3], 3
	s_add_u32 s8, s12, s2
	s_addc_u32 s9, s13, s3
	v_mad_u64_u32 v[3:4], s[2:3], s10, v1, v[3:4]
	s_lshl_b64 s[2:3], s[14:15], 3
	s_add_u32 s2, s8, s2
	v_lshlrev_b64 v[2:3], 3, v[2:3]
	s_addc_u32 s3, s9, s3
	v_mov_b32_e32 v4, s3
	v_add_co_u32_e32 v2, vcc, s2, v2
	v_addc_co_u32_e32 v3, vcc, v4, v3, vcc
	global_load_dwordx2 v[3:4], v[2:3], off
	v_add_u32_e32 v2, 1, v1
	s_waitcnt vmcnt(0)
	v_cmp_gt_f64_e32 vcc, 0, v[3:4]
	v_xor_b32_e32 v1, 0x80000000, v4
	v_cndmask_b32_e32 v4, v4, v1, vcc
.LBB12_2:
	s_or_b64 exec, exec, s[0:1]
	v_and_b32_e32 v1, 63, v0
	v_cmp_gt_u32_e32 vcc, 64, v0
	v_lshlrev_b32_e32 v11, 4, v1
	s_and_saveexec_b64 s[0:1], vcc
	s_cbranch_execz .LBB12_4
; %bb.3:
	v_mov_b32_e32 v5, 0
	v_mov_b32_e32 v6, v5
	ds_write_b32 v11, v5
	ds_write_b64 v11, v[5:6] offset:8
.LBB12_4:
	s_or_b64 exec, exec, s[0:1]
	v_mbcnt_lo_u32_b32 v5, -1, 0
	v_mbcnt_hi_u32_b32 v12, -1, v5
	v_mov_b32_e32 v5, 0x80
	v_lshl_or_b32 v5, v12, 2, v5
	ds_bpermute_b32 v9, v5, v2
	ds_bpermute_b32 v7, v5, v3
	;; [unrolled: 1-line block ×3, first 2 shown]
	v_mov_b32_e32 v6, v4
	v_mov_b32_e32 v5, v3
	s_waitcnt lgkmcnt(2)
	v_cmp_ne_u32_e64 s[0:1], 0, v9
	s_waitcnt lgkmcnt(0)
	s_barrier
	s_and_saveexec_b64 s[8:9], s[0:1]
	s_cbranch_execz .LBB12_8
; %bb.5:
	v_cmp_ngt_f64_e64 s[0:1], v[3:4], v[7:8]
	v_cmp_ne_u32_e64 s[2:3], 0, v2
	v_mov_b32_e32 v5, v7
	v_mov_b32_e32 v6, v8
	s_and_b64 s[0:1], s[2:3], s[0:1]
	s_and_saveexec_b64 s[2:3], s[0:1]
	s_cbranch_execz .LBB12_7
; %bb.6:
	v_cmp_eq_f64_e64 s[0:1], v[3:4], v[7:8]
	v_min_i32_e32 v5, v9, v2
	v_mov_b32_e32 v7, v3
	v_mov_b32_e32 v8, v4
	v_cndmask_b32_e64 v9, v2, v5, s[0:1]
	v_mov_b32_e32 v6, v4
	v_mov_b32_e32 v5, v3
.LBB12_7:
	s_or_b64 exec, exec, s[2:3]
	v_mov_b32_e32 v4, v8
	v_mov_b32_e32 v3, v7
	;; [unrolled: 1-line block ×3, first 2 shown]
.LBB12_8:
	s_or_b64 exec, exec, s[8:9]
	v_and_b32_e32 v16, 63, v12
	v_cmp_gt_u32_e64 s[0:1], 48, v16
	v_cndmask_b32_e64 v7, 0, 16, s[0:1]
	v_add_lshl_u32 v8, v7, v12, 2
	ds_bpermute_b32 v13, v8, v2
	ds_bpermute_b32 v7, v8, v3
	;; [unrolled: 1-line block ×3, first 2 shown]
	s_waitcnt lgkmcnt(2)
	v_cmp_ne_u32_e64 s[0:1], 0, v13
	s_and_saveexec_b64 s[8:9], s[0:1]
	s_cbranch_execz .LBB12_12
; %bb.9:
	s_waitcnt lgkmcnt(0)
	v_cmp_ngt_f64_e64 s[0:1], v[5:6], v[7:8]
	v_cmp_ne_u32_e64 s[2:3], 0, v2
	v_mov_b32_e32 v10, v8
	v_mov_b32_e32 v9, v7
	s_and_b64 s[0:1], s[2:3], s[0:1]
	s_and_saveexec_b64 s[2:3], s[0:1]
	s_cbranch_execz .LBB12_11
; %bb.10:
	v_cmp_eq_f64_e64 s[0:1], v[5:6], v[7:8]
	v_min_i32_e32 v9, v13, v2
	v_mov_b32_e32 v7, v3
	v_mov_b32_e32 v8, v4
	v_cndmask_b32_e64 v13, v2, v9, s[0:1]
	v_mov_b32_e32 v10, v6
	v_mov_b32_e32 v9, v5
.LBB12_11:
	s_or_b64 exec, exec, s[2:3]
	v_mov_b32_e32 v5, v9
	v_mov_b32_e32 v4, v8
	v_mov_b32_e32 v3, v7
	v_mov_b32_e32 v2, v13
	v_mov_b32_e32 v6, v10
.LBB12_12:
	s_or_b64 exec, exec, s[8:9]
	v_cmp_gt_u32_e64 s[0:1], 56, v16
	s_waitcnt lgkmcnt(1)
	v_cndmask_b32_e64 v7, 0, 8, s[0:1]
	v_add_lshl_u32 v13, v7, v12, 2
	ds_bpermute_b32 v14, v13, v2
	ds_bpermute_b32 v7, v13, v3
	s_waitcnt lgkmcnt(2)
	ds_bpermute_b32 v8, v13, v4
	s_waitcnt lgkmcnt(2)
	v_cmp_ne_u32_e64 s[0:1], 0, v14
	s_and_saveexec_b64 s[8:9], s[0:1]
	s_cbranch_execz .LBB12_16
; %bb.13:
	s_waitcnt lgkmcnt(0)
	v_cmp_ngt_f64_e64 s[0:1], v[5:6], v[7:8]
	v_cmp_ne_u32_e64 s[2:3], 0, v2
	v_mov_b32_e32 v10, v8
	v_mov_b32_e32 v9, v7
	s_and_b64 s[0:1], s[2:3], s[0:1]
	s_and_saveexec_b64 s[2:3], s[0:1]
	s_cbranch_execz .LBB12_15
; %bb.14:
	v_cmp_eq_f64_e64 s[0:1], v[5:6], v[7:8]
	v_min_i32_e32 v9, v14, v2
	v_mov_b32_e32 v7, v3
	v_mov_b32_e32 v8, v4
	v_cndmask_b32_e64 v14, v2, v9, s[0:1]
	v_mov_b32_e32 v10, v6
	v_mov_b32_e32 v9, v5
.LBB12_15:
	s_or_b64 exec, exec, s[2:3]
	v_mov_b32_e32 v5, v9
	v_mov_b32_e32 v4, v8
	v_mov_b32_e32 v3, v7
	v_mov_b32_e32 v2, v14
	v_mov_b32_e32 v6, v10
.LBB12_16:
	s_or_b64 exec, exec, s[8:9]
	v_cmp_gt_u32_e64 s[0:1], 60, v16
	s_waitcnt lgkmcnt(1)
	v_cndmask_b32_e64 v7, 0, 4, s[0:1]
	v_add_lshl_u32 v14, v7, v12, 2
	ds_bpermute_b32 v15, v14, v2
	ds_bpermute_b32 v7, v14, v3
	s_waitcnt lgkmcnt(2)
	ds_bpermute_b32 v8, v14, v4
	;; [unrolled: 38-line block ×3, first 2 shown]
	s_waitcnt lgkmcnt(2)
	v_cmp_ne_u32_e64 s[0:1], 0, v17
	s_and_saveexec_b64 s[8:9], s[0:1]
	s_cbranch_execz .LBB12_24
; %bb.21:
	s_waitcnt lgkmcnt(0)
	v_cmp_ngt_f64_e64 s[0:1], v[5:6], v[7:8]
	v_cmp_ne_u32_e64 s[2:3], 0, v2
	v_mov_b32_e32 v10, v8
	v_mov_b32_e32 v9, v7
	s_and_b64 s[0:1], s[2:3], s[0:1]
	s_and_saveexec_b64 s[2:3], s[0:1]
	s_cbranch_execz .LBB12_23
; %bb.22:
	v_cmp_eq_f64_e64 s[0:1], v[5:6], v[7:8]
	v_min_i32_e32 v9, v17, v2
	v_mov_b32_e32 v7, v3
	v_mov_b32_e32 v8, v4
	v_cndmask_b32_e64 v17, v2, v9, s[0:1]
	v_mov_b32_e32 v10, v6
	v_mov_b32_e32 v9, v5
.LBB12_23:
	s_or_b64 exec, exec, s[2:3]
	v_mov_b32_e32 v5, v9
	v_mov_b32_e32 v4, v8
	;; [unrolled: 1-line block ×5, first 2 shown]
.LBB12_24:
	s_or_b64 exec, exec, s[8:9]
	v_cmp_ne_u32_e64 s[0:1], 63, v16
	s_waitcnt lgkmcnt(1)
	v_addc_co_u32_e64 v7, s[0:1], 0, v12, s[0:1]
	v_lshlrev_b32_e32 v9, 2, v7
	ds_bpermute_b32 v7, v9, v2
	ds_bpermute_b32 v3, v9, v3
	;; [unrolled: 1-line block ×3, first 2 shown]
	s_waitcnt lgkmcnt(2)
	v_cmp_ne_u32_e64 s[0:1], 0, v7
	s_and_saveexec_b64 s[12:13], s[0:1]
	s_cbranch_execz .LBB12_26
; %bb.25:
	s_waitcnt lgkmcnt(0)
	v_cmp_gt_f64_e64 s[0:1], v[5:6], v[3:4]
	v_cmp_eq_f64_e64 s[8:9], v[5:6], v[3:4]
	v_cmp_eq_u32_e64 s[2:3], 0, v2
	v_min_i32_e32 v8, v7, v2
	s_or_b64 s[0:1], s[2:3], s[0:1]
	v_cndmask_b32_e64 v2, v2, v8, s[8:9]
	v_cndmask_b32_e64 v2, v2, v7, s[0:1]
	;; [unrolled: 1-line block ×4, first 2 shown]
.LBB12_26:
	s_or_b64 exec, exec, s[12:13]
	v_cmp_eq_u32_e64 s[0:1], 0, v1
	s_and_saveexec_b64 s[2:3], s[0:1]
	s_cbranch_execz .LBB12_28
; %bb.27:
	v_lshrrev_b32_e32 v1, 2, v0
	v_and_b32_e32 v1, 0xf0, v1
	ds_write_b32 v1, v2
	ds_write_b64 v1, v[5:6] offset:8
.LBB12_28:
	s_or_b64 exec, exec, s[2:3]
	v_mov_b32_e32 v1, 0
	v_cmp_gt_u32_e64 s[0:1], 16, v0
	v_mov_b32_e32 v2, 0
	v_mov_b32_e32 v10, 0
	s_waitcnt lgkmcnt(0)
	s_barrier
	s_and_saveexec_b64 s[2:3], s[0:1]
	s_cbranch_execz .LBB12_30
; %bb.29:
	ds_read_b32 v10, v11
	ds_read_b64 v[1:2], v11 offset:8
.LBB12_30:
	s_or_b64 exec, exec, s[2:3]
	s_and_saveexec_b64 s[8:9], vcc
	s_cbranch_execz .LBB12_46
; %bb.31:
	s_waitcnt lgkmcnt(1)
	ds_bpermute_b32 v7, v13, v10
	s_waitcnt lgkmcnt(1)
	ds_bpermute_b32 v5, v13, v1
	ds_bpermute_b32 v6, v13, v2
	v_mov_b32_e32 v4, v2
	v_mov_b32_e32 v3, v1
	s_waitcnt lgkmcnt(2)
	v_cmp_ne_u32_e32 vcc, 0, v7
	s_and_saveexec_b64 s[2:3], vcc
	s_cbranch_execz .LBB12_35
; %bb.32:
	s_waitcnt lgkmcnt(0)
	v_cmp_ngt_f64_e32 vcc, v[1:2], v[5:6]
	v_cmp_ne_u32_e64 s[0:1], 0, v10
	v_mov_b32_e32 v3, v5
	v_mov_b32_e32 v4, v6
	s_and_b64 s[12:13], s[0:1], vcc
	s_and_saveexec_b64 s[0:1], s[12:13]
	s_cbranch_execz .LBB12_34
; %bb.33:
	v_cmp_eq_f64_e32 vcc, v[1:2], v[5:6]
	v_min_i32_e32 v3, v7, v10
	v_mov_b32_e32 v5, v1
	v_mov_b32_e32 v6, v2
	v_cndmask_b32_e32 v7, v10, v3, vcc
	v_mov_b32_e32 v4, v2
	v_mov_b32_e32 v3, v1
.LBB12_34:
	s_or_b64 exec, exec, s[0:1]
	v_mov_b32_e32 v2, v6
	v_mov_b32_e32 v1, v5
	;; [unrolled: 1-line block ×3, first 2 shown]
.LBB12_35:
	s_or_b64 exec, exec, s[2:3]
	ds_bpermute_b32 v11, v14, v10
	s_waitcnt lgkmcnt(2)
	ds_bpermute_b32 v5, v14, v1
	s_waitcnt lgkmcnt(2)
	;; [unrolled: 2-line block ×3, first 2 shown]
	v_cmp_ne_u32_e32 vcc, 0, v11
	s_and_saveexec_b64 s[2:3], vcc
	s_cbranch_execz .LBB12_39
; %bb.36:
	s_waitcnt lgkmcnt(0)
	v_cmp_ngt_f64_e32 vcc, v[3:4], v[5:6]
	v_cmp_ne_u32_e64 s[0:1], 0, v10
	v_mov_b32_e32 v8, v6
	v_mov_b32_e32 v7, v5
	s_and_b64 s[12:13], s[0:1], vcc
	s_and_saveexec_b64 s[0:1], s[12:13]
	s_cbranch_execz .LBB12_38
; %bb.37:
	v_cmp_eq_f64_e32 vcc, v[3:4], v[5:6]
	v_min_i32_e32 v7, v11, v10
	v_mov_b32_e32 v5, v1
	v_mov_b32_e32 v6, v2
	v_cndmask_b32_e32 v11, v10, v7, vcc
	v_mov_b32_e32 v8, v4
	v_mov_b32_e32 v7, v3
.LBB12_38:
	s_or_b64 exec, exec, s[0:1]
	v_mov_b32_e32 v3, v7
	v_mov_b32_e32 v2, v6
	;; [unrolled: 1-line block ×5, first 2 shown]
.LBB12_39:
	s_or_b64 exec, exec, s[2:3]
	ds_bpermute_b32 v11, v15, v10
	s_waitcnt lgkmcnt(2)
	ds_bpermute_b32 v5, v15, v1
	s_waitcnt lgkmcnt(2)
	;; [unrolled: 2-line block ×3, first 2 shown]
	v_cmp_ne_u32_e32 vcc, 0, v11
	s_and_saveexec_b64 s[2:3], vcc
	s_cbranch_execz .LBB12_43
; %bb.40:
	s_waitcnt lgkmcnt(0)
	v_cmp_ngt_f64_e32 vcc, v[3:4], v[5:6]
	v_cmp_ne_u32_e64 s[0:1], 0, v10
	v_mov_b32_e32 v8, v6
	v_mov_b32_e32 v7, v5
	s_and_b64 s[12:13], s[0:1], vcc
	s_and_saveexec_b64 s[0:1], s[12:13]
	s_cbranch_execz .LBB12_42
; %bb.41:
	v_cmp_eq_f64_e32 vcc, v[3:4], v[5:6]
	v_min_i32_e32 v7, v11, v10
	v_mov_b32_e32 v5, v1
	v_mov_b32_e32 v6, v2
	v_cndmask_b32_e32 v11, v10, v7, vcc
	v_mov_b32_e32 v8, v4
	v_mov_b32_e32 v7, v3
.LBB12_42:
	s_or_b64 exec, exec, s[0:1]
	v_mov_b32_e32 v3, v7
	v_mov_b32_e32 v2, v6
	;; [unrolled: 1-line block ×5, first 2 shown]
.LBB12_43:
	s_or_b64 exec, exec, s[2:3]
	s_waitcnt lgkmcnt(1)
	ds_bpermute_b32 v5, v9, v10
	ds_bpermute_b32 v1, v9, v1
	;; [unrolled: 1-line block ×3, first 2 shown]
	s_waitcnt lgkmcnt(2)
	v_cmp_ne_u32_e32 vcc, 0, v5
	s_and_saveexec_b64 s[12:13], vcc
	s_cbranch_execz .LBB12_45
; %bb.44:
	s_waitcnt lgkmcnt(0)
	v_cmp_gt_f64_e32 vcc, v[3:4], v[1:2]
	v_cmp_eq_f64_e64 s[2:3], v[3:4], v[1:2]
	v_cmp_eq_u32_e64 s[0:1], 0, v10
	v_min_i32_e32 v6, v5, v10
	s_or_b64 vcc, s[0:1], vcc
	v_cndmask_b32_e64 v6, v10, v6, s[2:3]
	v_cndmask_b32_e32 v10, v6, v5, vcc
	v_cndmask_b32_e32 v4, v4, v2, vcc
	;; [unrolled: 1-line block ×3, first 2 shown]
.LBB12_45:
	s_or_b64 exec, exec, s[12:13]
	s_waitcnt lgkmcnt(0)
	v_mov_b32_e32 v1, v3
	v_mov_b32_e32 v2, v4
.LBB12_46:
	s_or_b64 exec, exec, s[8:9]
	s_mov_b32 s1, 0
	v_cmp_eq_u32_e32 vcc, 0, v0
	s_and_saveexec_b64 s[2:3], vcc
	s_cbranch_execz .LBB12_48
; %bb.47:
	s_load_dwordx2 s[2:3], s[4:5], 0x30
	s_mul_i32 s0, s11, s7
	s_add_i32 s0, s0, s6
	s_lshl_b64 s[0:1], s[0:1], 4
	v_mov_b32_e32 v0, 0
	s_waitcnt lgkmcnt(0)
	s_add_u32 s0, s2, s0
	s_addc_u32 s1, s3, s1
	global_store_dword v0, v10, s[0:1]
	global_store_dwordx2 v0, v[1:2], s[0:1] offset:8
.LBB12_48:
	s_endpgm
	.section	.rodata,"a",@progbits
	.p2align	6, 0x0
	.amdhsa_kernel _ZL32rocblas_iamax_iamin_kernel_part1ILi1024E23rocblas_fetch_amax_aminIdE19rocblas_reduce_aminPKd21rocblas_index_value_tIdEEviiT2_liliPT3_
		.amdhsa_group_segment_fixed_size 1024
		.amdhsa_private_segment_fixed_size 0
		.amdhsa_kernarg_size 56
		.amdhsa_user_sgpr_count 6
		.amdhsa_user_sgpr_private_segment_buffer 1
		.amdhsa_user_sgpr_dispatch_ptr 0
		.amdhsa_user_sgpr_queue_ptr 0
		.amdhsa_user_sgpr_kernarg_segment_ptr 1
		.amdhsa_user_sgpr_dispatch_id 0
		.amdhsa_user_sgpr_flat_scratch_init 0
		.amdhsa_user_sgpr_private_segment_size 0
		.amdhsa_uses_dynamic_stack 0
		.amdhsa_system_sgpr_private_segment_wavefront_offset 0
		.amdhsa_system_sgpr_workgroup_id_x 1
		.amdhsa_system_sgpr_workgroup_id_y 0
		.amdhsa_system_sgpr_workgroup_id_z 1
		.amdhsa_system_sgpr_workgroup_info 0
		.amdhsa_system_vgpr_workitem_id 0
		.amdhsa_next_free_vgpr 18
		.amdhsa_next_free_sgpr 16
		.amdhsa_reserve_vcc 1
		.amdhsa_reserve_flat_scratch 0
		.amdhsa_float_round_mode_32 0
		.amdhsa_float_round_mode_16_64 0
		.amdhsa_float_denorm_mode_32 3
		.amdhsa_float_denorm_mode_16_64 3
		.amdhsa_dx10_clamp 1
		.amdhsa_ieee_mode 1
		.amdhsa_fp16_overflow 0
		.amdhsa_exception_fp_ieee_invalid_op 0
		.amdhsa_exception_fp_denorm_src 0
		.amdhsa_exception_fp_ieee_div_zero 0
		.amdhsa_exception_fp_ieee_overflow 0
		.amdhsa_exception_fp_ieee_underflow 0
		.amdhsa_exception_fp_ieee_inexact 0
		.amdhsa_exception_int_div_zero 0
	.end_amdhsa_kernel
	.section	.text._ZL32rocblas_iamax_iamin_kernel_part1ILi1024E23rocblas_fetch_amax_aminIdE19rocblas_reduce_aminPKd21rocblas_index_value_tIdEEviiT2_liliPT3_,"axG",@progbits,_ZL32rocblas_iamax_iamin_kernel_part1ILi1024E23rocblas_fetch_amax_aminIdE19rocblas_reduce_aminPKd21rocblas_index_value_tIdEEviiT2_liliPT3_,comdat
.Lfunc_end12:
	.size	_ZL32rocblas_iamax_iamin_kernel_part1ILi1024E23rocblas_fetch_amax_aminIdE19rocblas_reduce_aminPKd21rocblas_index_value_tIdEEviiT2_liliPT3_, .Lfunc_end12-_ZL32rocblas_iamax_iamin_kernel_part1ILi1024E23rocblas_fetch_amax_aminIdE19rocblas_reduce_aminPKd21rocblas_index_value_tIdEEviiT2_liliPT3_
                                        ; -- End function
	.set _ZL32rocblas_iamax_iamin_kernel_part1ILi1024E23rocblas_fetch_amax_aminIdE19rocblas_reduce_aminPKd21rocblas_index_value_tIdEEviiT2_liliPT3_.num_vgpr, 18
	.set _ZL32rocblas_iamax_iamin_kernel_part1ILi1024E23rocblas_fetch_amax_aminIdE19rocblas_reduce_aminPKd21rocblas_index_value_tIdEEviiT2_liliPT3_.num_agpr, 0
	.set _ZL32rocblas_iamax_iamin_kernel_part1ILi1024E23rocblas_fetch_amax_aminIdE19rocblas_reduce_aminPKd21rocblas_index_value_tIdEEviiT2_liliPT3_.numbered_sgpr, 16
	.set _ZL32rocblas_iamax_iamin_kernel_part1ILi1024E23rocblas_fetch_amax_aminIdE19rocblas_reduce_aminPKd21rocblas_index_value_tIdEEviiT2_liliPT3_.num_named_barrier, 0
	.set _ZL32rocblas_iamax_iamin_kernel_part1ILi1024E23rocblas_fetch_amax_aminIdE19rocblas_reduce_aminPKd21rocblas_index_value_tIdEEviiT2_liliPT3_.private_seg_size, 0
	.set _ZL32rocblas_iamax_iamin_kernel_part1ILi1024E23rocblas_fetch_amax_aminIdE19rocblas_reduce_aminPKd21rocblas_index_value_tIdEEviiT2_liliPT3_.uses_vcc, 1
	.set _ZL32rocblas_iamax_iamin_kernel_part1ILi1024E23rocblas_fetch_amax_aminIdE19rocblas_reduce_aminPKd21rocblas_index_value_tIdEEviiT2_liliPT3_.uses_flat_scratch, 0
	.set _ZL32rocblas_iamax_iamin_kernel_part1ILi1024E23rocblas_fetch_amax_aminIdE19rocblas_reduce_aminPKd21rocblas_index_value_tIdEEviiT2_liliPT3_.has_dyn_sized_stack, 0
	.set _ZL32rocblas_iamax_iamin_kernel_part1ILi1024E23rocblas_fetch_amax_aminIdE19rocblas_reduce_aminPKd21rocblas_index_value_tIdEEviiT2_liliPT3_.has_recursion, 0
	.set _ZL32rocblas_iamax_iamin_kernel_part1ILi1024E23rocblas_fetch_amax_aminIdE19rocblas_reduce_aminPKd21rocblas_index_value_tIdEEviiT2_liliPT3_.has_indirect_call, 0
	.section	.AMDGPU.csdata,"",@progbits
; Kernel info:
; codeLenInByte = 1996
; TotalNumSgprs: 20
; NumVgprs: 18
; ScratchSize: 0
; MemoryBound: 0
; FloatMode: 240
; IeeeMode: 1
; LDSByteSize: 1024 bytes/workgroup (compile time only)
; SGPRBlocks: 2
; VGPRBlocks: 4
; NumSGPRsForWavesPerEU: 20
; NumVGPRsForWavesPerEU: 18
; Occupancy: 10
; WaveLimiterHint : 0
; COMPUTE_PGM_RSRC2:SCRATCH_EN: 0
; COMPUTE_PGM_RSRC2:USER_SGPR: 6
; COMPUTE_PGM_RSRC2:TRAP_HANDLER: 0
; COMPUTE_PGM_RSRC2:TGID_X_EN: 1
; COMPUTE_PGM_RSRC2:TGID_Y_EN: 0
; COMPUTE_PGM_RSRC2:TGID_Z_EN: 1
; COMPUTE_PGM_RSRC2:TIDIG_COMP_CNT: 0
	.section	.text._ZL32rocblas_iamax_iamin_kernel_part2ILi1024E19rocblas_reduce_amin21rocblas_index_value_tIdEiEviPT1_PT2_,"axG",@progbits,_ZL32rocblas_iamax_iamin_kernel_part2ILi1024E19rocblas_reduce_amin21rocblas_index_value_tIdEiEviPT1_PT2_,comdat
	.globl	_ZL32rocblas_iamax_iamin_kernel_part2ILi1024E19rocblas_reduce_amin21rocblas_index_value_tIdEiEviPT1_PT2_ ; -- Begin function _ZL32rocblas_iamax_iamin_kernel_part2ILi1024E19rocblas_reduce_amin21rocblas_index_value_tIdEiEviPT1_PT2_
	.p2align	8
	.type	_ZL32rocblas_iamax_iamin_kernel_part2ILi1024E19rocblas_reduce_amin21rocblas_index_value_tIdEiEviPT1_PT2_,@function
_ZL32rocblas_iamax_iamin_kernel_part2ILi1024E19rocblas_reduce_amin21rocblas_index_value_tIdEiEviPT1_PT2_: ; @_ZL32rocblas_iamax_iamin_kernel_part2ILi1024E19rocblas_reduce_amin21rocblas_index_value_tIdEiEviPT1_PT2_
; %bb.0:
	s_load_dword s7, s[4:5], 0x0
	s_load_dwordx4 s[8:11], s[4:5], 0x8
	v_mov_b32_e32 v9, 0
                                        ; implicit-def: $vgpr1_vgpr2
	s_waitcnt lgkmcnt(0)
	v_cmp_gt_i32_e32 vcc, s7, v0
	s_and_saveexec_b64 s[2:3], vcc
	s_cbranch_execz .LBB13_10
; %bb.1:
	s_mul_i32 s0, s7, s6
	s_mov_b32 s1, 0
	s_lshl_b64 s[0:1], s[0:1], 4
	s_add_u32 s4, s8, s0
	s_addc_u32 s5, s9, s1
	v_lshlrev_b32_e32 v3, 4, v0
	global_load_dword v9, v3, s[4:5]
	global_load_dwordx2 v[1:2], v3, s[4:5] offset:8
	v_or_b32_e32 v7, 0x400, v0
	v_cmp_gt_u32_e32 vcc, s7, v7
	s_and_saveexec_b64 s[4:5], vcc
	s_cbranch_execz .LBB13_9
; %bb.2:
	s_add_u32 s0, s8, s0
	s_addc_u32 s1, s9, s1
	v_mov_b32_e32 v4, s1
	v_add_co_u32_e32 v3, vcc, s0, v3
	v_addc_co_u32_e32 v4, vcc, 0, v4, vcc
	v_add_co_u32_e32 v3, vcc, 0x4008, v3
	v_addc_co_u32_e32 v4, vcc, 0, v4, vcc
	s_mov_b64 s[8:9], 0
	s_branch .LBB13_5
.LBB13_3:                               ;   in Loop: Header=BB13_5 Depth=1
	s_or_b64 exec, exec, s[0:1]
	v_mov_b32_e32 v1, v5
	v_mov_b32_e32 v9, v8
	v_mov_b32_e32 v2, v6
.LBB13_4:                               ;   in Loop: Header=BB13_5 Depth=1
	s_or_b64 exec, exec, s[12:13]
	v_add_u32_e32 v7, 0x400, v7
	v_add_co_u32_e32 v3, vcc, 0x4000, v3
	v_cmp_le_i32_e64 s[0:1], s7, v7
	s_or_b64 s[8:9], s[0:1], s[8:9]
	v_addc_co_u32_e32 v4, vcc, 0, v4, vcc
	s_andn2_b64 exec, exec, s[8:9]
	s_cbranch_execz .LBB13_8
.LBB13_5:                               ; =>This Inner Loop Header: Depth=1
	global_load_dword v8, v[3:4], off offset:-8
	s_waitcnt vmcnt(0)
	v_cmp_ne_u32_e32 vcc, 0, v8
	s_and_saveexec_b64 s[12:13], vcc
	s_cbranch_execz .LBB13_4
; %bb.6:                                ;   in Loop: Header=BB13_5 Depth=1
	global_load_dwordx2 v[5:6], v[3:4], off
	v_cmp_ne_u32_e64 s[0:1], 0, v9
	s_waitcnt vmcnt(0)
	v_cmp_nlt_f64_e32 vcc, v[5:6], v[1:2]
	s_and_b64 s[14:15], s[0:1], vcc
	s_and_saveexec_b64 s[0:1], s[14:15]
	s_cbranch_execz .LBB13_3
; %bb.7:                                ;   in Loop: Header=BB13_5 Depth=1
	v_cmp_eq_f64_e32 vcc, v[1:2], v[5:6]
	v_min_i32_e32 v8, v8, v9
	v_mov_b32_e32 v6, v2
	v_mov_b32_e32 v5, v1
	v_cndmask_b32_e32 v8, v9, v8, vcc
	s_branch .LBB13_3
.LBB13_8:
	s_or_b64 exec, exec, s[8:9]
.LBB13_9:
	s_or_b64 exec, exec, s[4:5]
.LBB13_10:
	s_or_b64 exec, exec, s[2:3]
	v_and_b32_e32 v11, 63, v0
	v_cmp_gt_u32_e32 vcc, 64, v0
	v_lshlrev_b32_e32 v10, 4, v11
	s_and_saveexec_b64 s[0:1], vcc
	s_cbranch_execz .LBB13_12
; %bb.11:
	v_mov_b32_e32 v3, 0
	v_mov_b32_e32 v4, v3
	ds_write_b32 v10, v3
	ds_write_b64 v10, v[3:4] offset:8
.LBB13_12:
	s_or_b64 exec, exec, s[0:1]
	v_mbcnt_lo_u32_b32 v3, -1, 0
	v_mbcnt_hi_u32_b32 v12, -1, v3
	v_mov_b32_e32 v3, 0x80
	v_lshl_or_b32 v3, v12, 2, v3
	s_waitcnt vmcnt(1)
	ds_bpermute_b32 v7, v3, v9
	s_waitcnt vmcnt(0)
	ds_bpermute_b32 v5, v3, v1
	ds_bpermute_b32 v6, v3, v2
	v_mov_b32_e32 v4, v2
	v_mov_b32_e32 v3, v1
	s_waitcnt lgkmcnt(2)
	v_cmp_ne_u32_e64 s[0:1], 0, v7
	s_waitcnt lgkmcnt(0)
	s_barrier
	s_and_saveexec_b64 s[4:5], s[0:1]
	s_cbranch_execz .LBB13_16
; %bb.13:
	v_cmp_ngt_f64_e64 s[0:1], v[1:2], v[5:6]
	v_cmp_ne_u32_e64 s[2:3], 0, v9
	v_mov_b32_e32 v3, v5
	v_mov_b32_e32 v4, v6
	s_and_b64 s[0:1], s[2:3], s[0:1]
	s_and_saveexec_b64 s[2:3], s[0:1]
	s_cbranch_execz .LBB13_15
; %bb.14:
	v_cmp_eq_f64_e64 s[0:1], v[1:2], v[5:6]
	v_min_i32_e32 v3, v7, v9
	v_mov_b32_e32 v5, v1
	v_mov_b32_e32 v6, v2
	v_cndmask_b32_e64 v7, v9, v3, s[0:1]
	v_mov_b32_e32 v4, v2
	v_mov_b32_e32 v3, v1
.LBB13_15:
	s_or_b64 exec, exec, s[2:3]
	v_mov_b32_e32 v2, v6
	v_mov_b32_e32 v1, v5
	;; [unrolled: 1-line block ×3, first 2 shown]
.LBB13_16:
	s_or_b64 exec, exec, s[4:5]
	v_and_b32_e32 v16, 63, v12
	v_cmp_gt_u32_e64 s[0:1], 48, v16
	v_cndmask_b32_e64 v5, 0, 16, s[0:1]
	v_add_lshl_u32 v6, v5, v12, 2
	ds_bpermute_b32 v13, v6, v9
	ds_bpermute_b32 v5, v6, v1
	;; [unrolled: 1-line block ×3, first 2 shown]
	s_waitcnt lgkmcnt(2)
	v_cmp_ne_u32_e64 s[0:1], 0, v13
	s_and_saveexec_b64 s[4:5], s[0:1]
	s_cbranch_execz .LBB13_20
; %bb.17:
	s_waitcnt lgkmcnt(0)
	v_cmp_ngt_f64_e64 s[0:1], v[3:4], v[5:6]
	v_cmp_ne_u32_e64 s[2:3], 0, v9
	v_mov_b32_e32 v8, v6
	v_mov_b32_e32 v7, v5
	s_and_b64 s[0:1], s[2:3], s[0:1]
	s_and_saveexec_b64 s[2:3], s[0:1]
	s_cbranch_execz .LBB13_19
; %bb.18:
	v_cmp_eq_f64_e64 s[0:1], v[3:4], v[5:6]
	v_min_i32_e32 v7, v13, v9
	v_mov_b32_e32 v5, v1
	v_mov_b32_e32 v6, v2
	v_cndmask_b32_e64 v13, v9, v7, s[0:1]
	v_mov_b32_e32 v8, v4
	v_mov_b32_e32 v7, v3
.LBB13_19:
	s_or_b64 exec, exec, s[2:3]
	v_mov_b32_e32 v3, v7
	v_mov_b32_e32 v2, v6
	v_mov_b32_e32 v1, v5
	v_mov_b32_e32 v9, v13
	v_mov_b32_e32 v4, v8
.LBB13_20:
	s_or_b64 exec, exec, s[4:5]
	v_cmp_gt_u32_e64 s[0:1], 56, v16
	s_waitcnt lgkmcnt(1)
	v_cndmask_b32_e64 v5, 0, 8, s[0:1]
	v_add_lshl_u32 v13, v5, v12, 2
	ds_bpermute_b32 v14, v13, v9
	ds_bpermute_b32 v5, v13, v1
	s_waitcnt lgkmcnt(2)
	ds_bpermute_b32 v6, v13, v2
	s_waitcnt lgkmcnt(2)
	v_cmp_ne_u32_e64 s[0:1], 0, v14
	s_and_saveexec_b64 s[4:5], s[0:1]
	s_cbranch_execz .LBB13_24
; %bb.21:
	s_waitcnt lgkmcnt(0)
	v_cmp_ngt_f64_e64 s[0:1], v[3:4], v[5:6]
	v_cmp_ne_u32_e64 s[2:3], 0, v9
	v_mov_b32_e32 v8, v6
	v_mov_b32_e32 v7, v5
	s_and_b64 s[0:1], s[2:3], s[0:1]
	s_and_saveexec_b64 s[2:3], s[0:1]
	s_cbranch_execz .LBB13_23
; %bb.22:
	v_cmp_eq_f64_e64 s[0:1], v[3:4], v[5:6]
	v_min_i32_e32 v7, v14, v9
	v_mov_b32_e32 v5, v1
	v_mov_b32_e32 v6, v2
	v_cndmask_b32_e64 v14, v9, v7, s[0:1]
	v_mov_b32_e32 v8, v4
	v_mov_b32_e32 v7, v3
.LBB13_23:
	s_or_b64 exec, exec, s[2:3]
	v_mov_b32_e32 v3, v7
	v_mov_b32_e32 v2, v6
	v_mov_b32_e32 v1, v5
	v_mov_b32_e32 v9, v14
	v_mov_b32_e32 v4, v8
.LBB13_24:
	s_or_b64 exec, exec, s[4:5]
	v_cmp_gt_u32_e64 s[0:1], 60, v16
	s_waitcnt lgkmcnt(1)
	v_cndmask_b32_e64 v5, 0, 4, s[0:1]
	v_add_lshl_u32 v14, v5, v12, 2
	ds_bpermute_b32 v15, v14, v9
	ds_bpermute_b32 v5, v14, v1
	s_waitcnt lgkmcnt(2)
	ds_bpermute_b32 v6, v14, v2
	;; [unrolled: 38-line block ×3, first 2 shown]
	s_waitcnt lgkmcnt(2)
	v_cmp_ne_u32_e64 s[0:1], 0, v17
	s_and_saveexec_b64 s[4:5], s[0:1]
	s_cbranch_execz .LBB13_32
; %bb.29:
	s_waitcnt lgkmcnt(0)
	v_cmp_ngt_f64_e64 s[0:1], v[3:4], v[5:6]
	v_cmp_ne_u32_e64 s[2:3], 0, v9
	v_mov_b32_e32 v8, v6
	v_mov_b32_e32 v7, v5
	s_and_b64 s[0:1], s[2:3], s[0:1]
	s_and_saveexec_b64 s[2:3], s[0:1]
	s_cbranch_execz .LBB13_31
; %bb.30:
	v_cmp_eq_f64_e64 s[0:1], v[3:4], v[5:6]
	v_min_i32_e32 v7, v17, v9
	v_mov_b32_e32 v5, v1
	v_mov_b32_e32 v6, v2
	v_cndmask_b32_e64 v17, v9, v7, s[0:1]
	v_mov_b32_e32 v8, v4
	v_mov_b32_e32 v7, v3
.LBB13_31:
	s_or_b64 exec, exec, s[2:3]
	v_mov_b32_e32 v3, v7
	v_mov_b32_e32 v2, v6
	v_mov_b32_e32 v1, v5
	v_mov_b32_e32 v9, v17
	v_mov_b32_e32 v4, v8
.LBB13_32:
	s_or_b64 exec, exec, s[4:5]
	v_cmp_ne_u32_e64 s[0:1], 63, v16
	s_waitcnt lgkmcnt(1)
	v_addc_co_u32_e64 v5, s[0:1], 0, v12, s[0:1]
	v_lshlrev_b32_e32 v12, 2, v5
	ds_bpermute_b32 v5, v12, v9
	ds_bpermute_b32 v1, v12, v1
	;; [unrolled: 1-line block ×3, first 2 shown]
	s_waitcnt lgkmcnt(2)
	v_cmp_ne_u32_e64 s[0:1], 0, v5
	s_and_saveexec_b64 s[8:9], s[0:1]
	s_cbranch_execz .LBB13_34
; %bb.33:
	s_waitcnt lgkmcnt(0)
	v_cmp_gt_f64_e64 s[0:1], v[3:4], v[1:2]
	v_cmp_eq_f64_e64 s[4:5], v[3:4], v[1:2]
	v_cmp_eq_u32_e64 s[2:3], 0, v9
	v_min_i32_e32 v6, v5, v9
	s_or_b64 s[0:1], s[2:3], s[0:1]
	v_cndmask_b32_e64 v6, v9, v6, s[4:5]
	v_cndmask_b32_e64 v9, v6, v5, s[0:1]
	;; [unrolled: 1-line block ×4, first 2 shown]
.LBB13_34:
	s_or_b64 exec, exec, s[8:9]
	v_cmp_eq_u32_e64 s[0:1], 0, v11
	s_and_saveexec_b64 s[2:3], s[0:1]
	s_cbranch_execz .LBB13_36
; %bb.35:
	s_waitcnt lgkmcnt(1)
	v_lshrrev_b32_e32 v1, 2, v0
	v_and_b32_e32 v1, 0xf0, v1
	ds_write_b32 v1, v9
	ds_write_b64 v1, v[3:4] offset:8
.LBB13_36:
	s_or_b64 exec, exec, s[2:3]
	s_waitcnt lgkmcnt(0)
	v_mov_b32_e32 v1, 0
	v_cmp_gt_u32_e64 s[0:1], 16, v0
	v_mov_b32_e32 v2, 0
	v_mov_b32_e32 v9, 0
	s_barrier
	s_and_saveexec_b64 s[2:3], s[0:1]
	s_cbranch_execz .LBB13_38
; %bb.37:
	ds_read_b32 v9, v10
	ds_read_b64 v[1:2], v10 offset:8
.LBB13_38:
	s_or_b64 exec, exec, s[2:3]
	s_and_saveexec_b64 s[4:5], vcc
	s_cbranch_execz .LBB13_54
; %bb.39:
	s_waitcnt lgkmcnt(1)
	ds_bpermute_b32 v7, v13, v9
	s_waitcnt lgkmcnt(1)
	ds_bpermute_b32 v5, v13, v1
	ds_bpermute_b32 v6, v13, v2
	v_mov_b32_e32 v4, v2
	v_mov_b32_e32 v3, v1
	s_waitcnt lgkmcnt(2)
	v_cmp_ne_u32_e32 vcc, 0, v7
	s_and_saveexec_b64 s[2:3], vcc
	s_cbranch_execz .LBB13_43
; %bb.40:
	s_waitcnt lgkmcnt(0)
	v_cmp_ngt_f64_e32 vcc, v[1:2], v[5:6]
	v_cmp_ne_u32_e64 s[0:1], 0, v9
	v_mov_b32_e32 v3, v5
	v_mov_b32_e32 v4, v6
	s_and_b64 s[8:9], s[0:1], vcc
	s_and_saveexec_b64 s[0:1], s[8:9]
	s_cbranch_execz .LBB13_42
; %bb.41:
	v_cmp_eq_f64_e32 vcc, v[1:2], v[5:6]
	v_min_i32_e32 v3, v7, v9
	v_mov_b32_e32 v5, v1
	v_mov_b32_e32 v6, v2
	v_cndmask_b32_e32 v7, v9, v3, vcc
	v_mov_b32_e32 v4, v2
	v_mov_b32_e32 v3, v1
.LBB13_42:
	s_or_b64 exec, exec, s[0:1]
	v_mov_b32_e32 v2, v6
	v_mov_b32_e32 v1, v5
	v_mov_b32_e32 v9, v7
.LBB13_43:
	s_or_b64 exec, exec, s[2:3]
	ds_bpermute_b32 v10, v14, v9
	s_waitcnt lgkmcnt(2)
	ds_bpermute_b32 v5, v14, v1
	s_waitcnt lgkmcnt(2)
	ds_bpermute_b32 v6, v14, v2
	s_waitcnt lgkmcnt(2)
	v_cmp_ne_u32_e32 vcc, 0, v10
	s_and_saveexec_b64 s[2:3], vcc
	s_cbranch_execz .LBB13_47
; %bb.44:
	s_waitcnt lgkmcnt(0)
	v_cmp_ngt_f64_e32 vcc, v[3:4], v[5:6]
	v_cmp_ne_u32_e64 s[0:1], 0, v9
	v_mov_b32_e32 v8, v6
	v_mov_b32_e32 v7, v5
	s_and_b64 s[8:9], s[0:1], vcc
	s_and_saveexec_b64 s[0:1], s[8:9]
	s_cbranch_execz .LBB13_46
; %bb.45:
	v_cmp_eq_f64_e32 vcc, v[3:4], v[5:6]
	v_min_i32_e32 v7, v10, v9
	v_mov_b32_e32 v5, v1
	v_mov_b32_e32 v6, v2
	v_cndmask_b32_e32 v10, v9, v7, vcc
	v_mov_b32_e32 v8, v4
	v_mov_b32_e32 v7, v3
.LBB13_46:
	s_or_b64 exec, exec, s[0:1]
	v_mov_b32_e32 v3, v7
	v_mov_b32_e32 v2, v6
	;; [unrolled: 1-line block ×5, first 2 shown]
.LBB13_47:
	s_or_b64 exec, exec, s[2:3]
	ds_bpermute_b32 v10, v15, v9
	s_waitcnt lgkmcnt(2)
	ds_bpermute_b32 v5, v15, v1
	s_waitcnt lgkmcnt(2)
	;; [unrolled: 2-line block ×3, first 2 shown]
	v_cmp_ne_u32_e32 vcc, 0, v10
	s_and_saveexec_b64 s[2:3], vcc
	s_cbranch_execz .LBB13_51
; %bb.48:
	s_waitcnt lgkmcnt(0)
	v_cmp_ngt_f64_e32 vcc, v[3:4], v[5:6]
	v_cmp_ne_u32_e64 s[0:1], 0, v9
	v_mov_b32_e32 v8, v6
	v_mov_b32_e32 v7, v5
	s_and_b64 s[8:9], s[0:1], vcc
	s_and_saveexec_b64 s[0:1], s[8:9]
	s_cbranch_execz .LBB13_50
; %bb.49:
	v_cmp_eq_f64_e32 vcc, v[3:4], v[5:6]
	v_min_i32_e32 v7, v10, v9
	v_mov_b32_e32 v5, v1
	v_mov_b32_e32 v6, v2
	v_cndmask_b32_e32 v10, v9, v7, vcc
	v_mov_b32_e32 v8, v4
	v_mov_b32_e32 v7, v3
.LBB13_50:
	s_or_b64 exec, exec, s[0:1]
	v_mov_b32_e32 v3, v7
	v_mov_b32_e32 v2, v6
	;; [unrolled: 1-line block ×5, first 2 shown]
.LBB13_51:
	s_or_b64 exec, exec, s[2:3]
	s_waitcnt lgkmcnt(1)
	ds_bpermute_b32 v5, v12, v9
	ds_bpermute_b32 v1, v12, v1
	ds_bpermute_b32 v2, v12, v2
	s_waitcnt lgkmcnt(2)
	v_cmp_ne_u32_e32 vcc, 0, v5
	s_and_saveexec_b64 s[8:9], vcc
	s_cbranch_execz .LBB13_53
; %bb.52:
	s_waitcnt lgkmcnt(0)
	v_cmp_gt_f64_e32 vcc, v[3:4], v[1:2]
	v_cmp_eq_f64_e64 s[2:3], v[3:4], v[1:2]
	v_cmp_eq_u32_e64 s[0:1], 0, v9
	v_min_i32_e32 v6, v5, v9
	s_or_b64 vcc, s[0:1], vcc
	v_cndmask_b32_e64 v1, v9, v6, s[2:3]
	v_cndmask_b32_e32 v9, v1, v5, vcc
.LBB13_53:
	s_or_b64 exec, exec, s[8:9]
.LBB13_54:
	s_or_b64 exec, exec, s[4:5]
	s_mov_b32 s7, 0
	v_cmp_eq_u32_e32 vcc, 0, v0
	s_and_saveexec_b64 s[0:1], vcc
	s_cbranch_execz .LBB13_56
; %bb.55:
	s_lshl_b64 s[0:1], s[6:7], 2
	s_add_u32 s0, s10, s0
	s_addc_u32 s1, s11, s1
	v_mov_b32_e32 v0, 0
	s_waitcnt lgkmcnt(1)
	global_store_dword v0, v9, s[0:1]
.LBB13_56:
	s_endpgm
	.section	.rodata,"a",@progbits
	.p2align	6, 0x0
	.amdhsa_kernel _ZL32rocblas_iamax_iamin_kernel_part2ILi1024E19rocblas_reduce_amin21rocblas_index_value_tIdEiEviPT1_PT2_
		.amdhsa_group_segment_fixed_size 1024
		.amdhsa_private_segment_fixed_size 0
		.amdhsa_kernarg_size 24
		.amdhsa_user_sgpr_count 6
		.amdhsa_user_sgpr_private_segment_buffer 1
		.amdhsa_user_sgpr_dispatch_ptr 0
		.amdhsa_user_sgpr_queue_ptr 0
		.amdhsa_user_sgpr_kernarg_segment_ptr 1
		.amdhsa_user_sgpr_dispatch_id 0
		.amdhsa_user_sgpr_flat_scratch_init 0
		.amdhsa_user_sgpr_private_segment_size 0
		.amdhsa_uses_dynamic_stack 0
		.amdhsa_system_sgpr_private_segment_wavefront_offset 0
		.amdhsa_system_sgpr_workgroup_id_x 1
		.amdhsa_system_sgpr_workgroup_id_y 0
		.amdhsa_system_sgpr_workgroup_id_z 0
		.amdhsa_system_sgpr_workgroup_info 0
		.amdhsa_system_vgpr_workitem_id 0
		.amdhsa_next_free_vgpr 18
		.amdhsa_next_free_sgpr 16
		.amdhsa_reserve_vcc 1
		.amdhsa_reserve_flat_scratch 0
		.amdhsa_float_round_mode_32 0
		.amdhsa_float_round_mode_16_64 0
		.amdhsa_float_denorm_mode_32 3
		.amdhsa_float_denorm_mode_16_64 3
		.amdhsa_dx10_clamp 1
		.amdhsa_ieee_mode 1
		.amdhsa_fp16_overflow 0
		.amdhsa_exception_fp_ieee_invalid_op 0
		.amdhsa_exception_fp_denorm_src 0
		.amdhsa_exception_fp_ieee_div_zero 0
		.amdhsa_exception_fp_ieee_overflow 0
		.amdhsa_exception_fp_ieee_underflow 0
		.amdhsa_exception_fp_ieee_inexact 0
		.amdhsa_exception_int_div_zero 0
	.end_amdhsa_kernel
	.section	.text._ZL32rocblas_iamax_iamin_kernel_part2ILi1024E19rocblas_reduce_amin21rocblas_index_value_tIdEiEviPT1_PT2_,"axG",@progbits,_ZL32rocblas_iamax_iamin_kernel_part2ILi1024E19rocblas_reduce_amin21rocblas_index_value_tIdEiEviPT1_PT2_,comdat
.Lfunc_end13:
	.size	_ZL32rocblas_iamax_iamin_kernel_part2ILi1024E19rocblas_reduce_amin21rocblas_index_value_tIdEiEviPT1_PT2_, .Lfunc_end13-_ZL32rocblas_iamax_iamin_kernel_part2ILi1024E19rocblas_reduce_amin21rocblas_index_value_tIdEiEviPT1_PT2_
                                        ; -- End function
	.set _ZL32rocblas_iamax_iamin_kernel_part2ILi1024E19rocblas_reduce_amin21rocblas_index_value_tIdEiEviPT1_PT2_.num_vgpr, 18
	.set _ZL32rocblas_iamax_iamin_kernel_part2ILi1024E19rocblas_reduce_amin21rocblas_index_value_tIdEiEviPT1_PT2_.num_agpr, 0
	.set _ZL32rocblas_iamax_iamin_kernel_part2ILi1024E19rocblas_reduce_amin21rocblas_index_value_tIdEiEviPT1_PT2_.numbered_sgpr, 16
	.set _ZL32rocblas_iamax_iamin_kernel_part2ILi1024E19rocblas_reduce_amin21rocblas_index_value_tIdEiEviPT1_PT2_.num_named_barrier, 0
	.set _ZL32rocblas_iamax_iamin_kernel_part2ILi1024E19rocblas_reduce_amin21rocblas_index_value_tIdEiEviPT1_PT2_.private_seg_size, 0
	.set _ZL32rocblas_iamax_iamin_kernel_part2ILi1024E19rocblas_reduce_amin21rocblas_index_value_tIdEiEviPT1_PT2_.uses_vcc, 1
	.set _ZL32rocblas_iamax_iamin_kernel_part2ILi1024E19rocblas_reduce_amin21rocblas_index_value_tIdEiEviPT1_PT2_.uses_flat_scratch, 0
	.set _ZL32rocblas_iamax_iamin_kernel_part2ILi1024E19rocblas_reduce_amin21rocblas_index_value_tIdEiEviPT1_PT2_.has_dyn_sized_stack, 0
	.set _ZL32rocblas_iamax_iamin_kernel_part2ILi1024E19rocblas_reduce_amin21rocblas_index_value_tIdEiEviPT1_PT2_.has_recursion, 0
	.set _ZL32rocblas_iamax_iamin_kernel_part2ILi1024E19rocblas_reduce_amin21rocblas_index_value_tIdEiEviPT1_PT2_.has_indirect_call, 0
	.section	.AMDGPU.csdata,"",@progbits
; Kernel info:
; codeLenInByte = 2068
; TotalNumSgprs: 20
; NumVgprs: 18
; ScratchSize: 0
; MemoryBound: 0
; FloatMode: 240
; IeeeMode: 1
; LDSByteSize: 1024 bytes/workgroup (compile time only)
; SGPRBlocks: 2
; VGPRBlocks: 4
; NumSGPRsForWavesPerEU: 20
; NumVGPRsForWavesPerEU: 18
; Occupancy: 10
; WaveLimiterHint : 0
; COMPUTE_PGM_RSRC2:SCRATCH_EN: 0
; COMPUTE_PGM_RSRC2:USER_SGPR: 6
; COMPUTE_PGM_RSRC2:TRAP_HANDLER: 0
; COMPUTE_PGM_RSRC2:TGID_X_EN: 1
; COMPUTE_PGM_RSRC2:TGID_Y_EN: 0
; COMPUTE_PGM_RSRC2:TGID_Z_EN: 0
; COMPUTE_PGM_RSRC2:TIDIG_COMP_CNT: 0
	.section	.text._ZL32rocblas_iamax_iamin_kernel_part1ILi1024E23rocblas_fetch_amax_aminIfE19rocblas_reduce_aminPK19rocblas_complex_numIfE21rocblas_index_value_tIfEEviiT2_liliPT3_,"axG",@progbits,_ZL32rocblas_iamax_iamin_kernel_part1ILi1024E23rocblas_fetch_amax_aminIfE19rocblas_reduce_aminPK19rocblas_complex_numIfE21rocblas_index_value_tIfEEviiT2_liliPT3_,comdat
	.globl	_ZL32rocblas_iamax_iamin_kernel_part1ILi1024E23rocblas_fetch_amax_aminIfE19rocblas_reduce_aminPK19rocblas_complex_numIfE21rocblas_index_value_tIfEEviiT2_liliPT3_ ; -- Begin function _ZL32rocblas_iamax_iamin_kernel_part1ILi1024E23rocblas_fetch_amax_aminIfE19rocblas_reduce_aminPK19rocblas_complex_numIfE21rocblas_index_value_tIfEEviiT2_liliPT3_
	.p2align	8
	.type	_ZL32rocblas_iamax_iamin_kernel_part1ILi1024E23rocblas_fetch_amax_aminIfE19rocblas_reduce_aminPK19rocblas_complex_numIfE21rocblas_index_value_tIfEEviiT2_liliPT3_,@function
_ZL32rocblas_iamax_iamin_kernel_part1ILi1024E23rocblas_fetch_amax_aminIfE19rocblas_reduce_aminPK19rocblas_complex_numIfE21rocblas_index_value_tIfEEviiT2_liliPT3_: ; @_ZL32rocblas_iamax_iamin_kernel_part1ILi1024E23rocblas_fetch_amax_aminIfE19rocblas_reduce_aminPK19rocblas_complex_numIfE21rocblas_index_value_tIfEEviiT2_liliPT3_
; %bb.0:
	s_load_dwordx2 s[10:11], s[4:5], 0x0
	v_lshl_or_b32 v1, s6, 10, v0
	v_mov_b32_e32 v2, 0
                                        ; implicit-def: $vgpr3
	s_waitcnt lgkmcnt(0)
	s_ashr_i32 s1, s10, 31
	s_mov_b32 s0, s10
	v_cmp_gt_i64_e32 vcc, s[0:1], v[1:2]
	s_and_saveexec_b64 s[0:1], vcc
	s_cbranch_execz .LBB14_2
; %bb.1:
	s_load_dword s8, s[4:5], 0x18
	s_load_dwordx2 s[2:3], s[4:5], 0x20
	s_load_dwordx4 s[12:15], s[4:5], 0x8
	s_waitcnt lgkmcnt(0)
	s_ashr_i32 s10, s8, 31
	s_mul_i32 s3, s3, s7
	s_mul_hi_u32 s9, s2, s7
	s_add_i32 s3, s9, s3
	v_mad_u64_u32 v[2:3], s[8:9], s8, v1, 0
	s_mul_i32 s2, s2, s7
	s_lshl_b64 s[2:3], s[2:3], 3
	s_add_u32 s8, s12, s2
	s_addc_u32 s9, s13, s3
	v_mad_u64_u32 v[3:4], s[2:3], s10, v1, v[3:4]
	s_lshl_b64 s[2:3], s[14:15], 3
	s_add_u32 s2, s8, s2
	v_lshlrev_b64 v[2:3], 3, v[2:3]
	s_addc_u32 s3, s9, s3
	v_mov_b32_e32 v4, s3
	v_add_co_u32_e32 v2, vcc, s2, v2
	v_addc_co_u32_e32 v3, vcc, v4, v3, vcc
	global_load_dwordx2 v[3:4], v[2:3], off
	v_add_u32_e32 v2, 1, v1
	s_waitcnt vmcnt(0)
	v_cmp_gt_f32_e32 vcc, 0, v3
	v_cndmask_b32_e64 v1, v3, -v3, vcc
	v_cmp_gt_f32_e32 vcc, 0, v4
	v_cndmask_b32_e64 v3, v4, -v4, vcc
	v_add_f32_e32 v3, v1, v3
.LBB14_2:
	s_or_b64 exec, exec, s[0:1]
	v_and_b32_e32 v1, 63, v0
	v_cmp_gt_u32_e32 vcc, 64, v0
	v_lshlrev_b32_e32 v4, 3, v1
	s_and_saveexec_b64 s[0:1], vcc
; %bb.3:
	v_mov_b32_e32 v5, 0
	v_mov_b32_e32 v6, v5
	ds_write_b64 v4, v[5:6]
; %bb.4:
	s_or_b64 exec, exec, s[0:1]
	v_mbcnt_lo_u32_b32 v5, -1, 0
	v_mbcnt_hi_u32_b32 v5, -1, v5
	v_mov_b32_e32 v6, 0x80
	v_lshl_or_b32 v7, v5, 2, v6
	ds_bpermute_b32 v6, v7, v2
	ds_bpermute_b32 v7, v7, v3
	s_waitcnt lgkmcnt(0)
	s_barrier
	v_cmp_ne_u32_e64 s[0:1], 0, v6
	s_and_saveexec_b64 s[12:13], s[0:1]
; %bb.5:
	v_cmp_eq_u32_e64 s[0:1], 0, v2
	v_cmp_gt_f32_e64 s[2:3], v3, v7
	v_min_i32_e32 v8, v6, v2
	v_cmp_eq_f32_e64 s[8:9], v3, v7
	v_cndmask_b32_e64 v2, v2, v8, s[8:9]
	s_or_b64 s[0:1], s[0:1], s[2:3]
	v_cndmask_b32_e64 v2, v2, v6, s[0:1]
	v_cndmask_b32_e64 v3, v3, v7, s[0:1]
; %bb.6:
	s_or_b64 exec, exec, s[12:13]
	v_and_b32_e32 v9, 63, v5
	v_cmp_gt_u32_e64 s[0:1], 48, v9
	v_cndmask_b32_e64 v6, 0, 16, s[0:1]
	v_add_lshl_u32 v7, v6, v5, 2
	ds_bpermute_b32 v6, v7, v2
	ds_bpermute_b32 v7, v7, v3
	v_mov_b32_e32 v10, v3
	s_waitcnt lgkmcnt(1)
	v_cmp_ne_u32_e64 s[0:1], 0, v6
	s_and_saveexec_b64 s[8:9], s[0:1]
	s_cbranch_execz .LBB14_10
; %bb.7:
	v_cmp_ne_u32_e64 s[0:1], 0, v2
	s_waitcnt lgkmcnt(0)
	v_cmp_ngt_f32_e64 s[2:3], v3, v7
	s_and_b64 s[0:1], s[0:1], s[2:3]
	s_and_saveexec_b64 s[2:3], s[0:1]
; %bb.8:
	v_min_i32_e32 v6, v6, v2
	v_cmp_eq_f32_e64 s[0:1], v3, v7
	v_cndmask_b32_e64 v6, v2, v6, s[0:1]
	v_mov_b32_e32 v7, v3
; %bb.9:
	s_or_b64 exec, exec, s[2:3]
	v_mov_b32_e32 v3, v7
	v_mov_b32_e32 v2, v6
	;; [unrolled: 1-line block ×3, first 2 shown]
.LBB14_10:
	s_or_b64 exec, exec, s[8:9]
	v_cmp_gt_u32_e64 s[0:1], 56, v9
	v_cndmask_b32_e64 v6, 0, 8, s[0:1]
	v_add_lshl_u32 v6, v6, v5, 2
	s_waitcnt lgkmcnt(0)
	ds_bpermute_b32 v7, v6, v2
	ds_bpermute_b32 v8, v6, v3
	s_waitcnt lgkmcnt(1)
	v_cmp_ne_u32_e64 s[0:1], 0, v7
	s_and_saveexec_b64 s[8:9], s[0:1]
	s_cbranch_execz .LBB14_14
; %bb.11:
	v_cmp_ne_u32_e64 s[0:1], 0, v2
	s_waitcnt lgkmcnt(0)
	v_cmp_ngt_f32_e64 s[2:3], v10, v8
	s_and_b64 s[0:1], s[0:1], s[2:3]
	v_mov_b32_e32 v11, v8
	s_and_saveexec_b64 s[2:3], s[0:1]
; %bb.12:
	v_min_i32_e32 v7, v7, v2
	v_cmp_eq_f32_e64 s[0:1], v10, v8
	v_cndmask_b32_e64 v7, v2, v7, s[0:1]
	v_mov_b32_e32 v11, v10
	v_mov_b32_e32 v8, v3
; %bb.13:
	s_or_b64 exec, exec, s[2:3]
	v_mov_b32_e32 v3, v8
	v_mov_b32_e32 v2, v7
	v_mov_b32_e32 v10, v11
.LBB14_14:
	s_or_b64 exec, exec, s[8:9]
	v_cmp_gt_u32_e64 s[0:1], 60, v9
	v_cndmask_b32_e64 v7, 0, 4, s[0:1]
	v_add_lshl_u32 v7, v7, v5, 2
	s_waitcnt lgkmcnt(0)
	ds_bpermute_b32 v8, v7, v2
	ds_bpermute_b32 v11, v7, v3
	s_waitcnt lgkmcnt(1)
	v_cmp_ne_u32_e64 s[0:1], 0, v8
	s_and_saveexec_b64 s[8:9], s[0:1]
	s_cbranch_execz .LBB14_18
; %bb.15:
	v_cmp_ne_u32_e64 s[0:1], 0, v2
	s_waitcnt lgkmcnt(0)
	v_cmp_ngt_f32_e64 s[2:3], v10, v11
	s_and_b64 s[0:1], s[0:1], s[2:3]
	v_mov_b32_e32 v12, v11
	s_and_saveexec_b64 s[2:3], s[0:1]
; %bb.16:
	v_min_i32_e32 v8, v8, v2
	v_cmp_eq_f32_e64 s[0:1], v10, v11
	v_cndmask_b32_e64 v8, v2, v8, s[0:1]
	v_mov_b32_e32 v12, v10
	v_mov_b32_e32 v11, v3
; %bb.17:
	s_or_b64 exec, exec, s[2:3]
	v_mov_b32_e32 v3, v11
	v_mov_b32_e32 v2, v8
	v_mov_b32_e32 v10, v12
.LBB14_18:
	s_or_b64 exec, exec, s[8:9]
	v_cmp_gt_u32_e64 s[0:1], 62, v9
	v_cndmask_b32_e64 v8, 0, 2, s[0:1]
	v_add_lshl_u32 v8, v8, v5, 2
	s_waitcnt lgkmcnt(0)
	ds_bpermute_b32 v11, v8, v2
	ds_bpermute_b32 v12, v8, v3
	s_waitcnt lgkmcnt(1)
	v_cmp_ne_u32_e64 s[0:1], 0, v11
	s_and_saveexec_b64 s[8:9], s[0:1]
	s_cbranch_execz .LBB14_22
; %bb.19:
	v_cmp_ne_u32_e64 s[0:1], 0, v2
	s_waitcnt lgkmcnt(0)
	v_cmp_ngt_f32_e64 s[2:3], v10, v12
	s_and_b64 s[0:1], s[0:1], s[2:3]
	v_mov_b32_e32 v13, v12
	s_and_saveexec_b64 s[2:3], s[0:1]
; %bb.20:
	v_min_i32_e32 v11, v11, v2
	v_cmp_eq_f32_e64 s[0:1], v10, v12
	v_cndmask_b32_e64 v11, v2, v11, s[0:1]
	v_mov_b32_e32 v13, v10
	v_mov_b32_e32 v12, v3
; %bb.21:
	s_or_b64 exec, exec, s[2:3]
	v_mov_b32_e32 v3, v12
	v_mov_b32_e32 v2, v11
	v_mov_b32_e32 v10, v13
.LBB14_22:
	s_or_b64 exec, exec, s[8:9]
	v_cmp_ne_u32_e64 s[0:1], 63, v9
	v_addc_co_u32_e64 v5, s[0:1], 0, v5, s[0:1]
	v_lshlrev_b32_e32 v5, 2, v5
	ds_bpermute_b32 v9, v5, v2
	ds_bpermute_b32 v11, v5, v3
	s_waitcnt lgkmcnt(1)
	v_cmp_ne_u32_e64 s[0:1], 0, v9
	s_and_saveexec_b64 s[12:13], s[0:1]
	s_cbranch_execz .LBB14_24
; %bb.23:
	v_cmp_eq_u32_e64 s[0:1], 0, v2
	s_waitcnt lgkmcnt(0)
	v_cmp_gt_f32_e64 s[2:3], v10, v11
	v_min_i32_e32 v12, v9, v2
	v_cmp_eq_f32_e64 s[8:9], v10, v11
	v_cndmask_b32_e64 v2, v2, v12, s[8:9]
	s_or_b64 s[0:1], s[0:1], s[2:3]
	v_cndmask_b32_e64 v3, v3, v11, s[0:1]
	v_cndmask_b32_e64 v2, v2, v9, s[0:1]
.LBB14_24:
	s_or_b64 exec, exec, s[12:13]
	v_cmp_eq_u32_e64 s[0:1], 0, v1
	s_and_saveexec_b64 s[2:3], s[0:1]
; %bb.25:
	v_lshrrev_b32_e32 v1, 3, v0
	v_and_b32_e32 v1, 0x78, v1
	ds_write_b64 v1, v[2:3]
; %bb.26:
	s_or_b64 exec, exec, s[2:3]
	v_cmp_gt_u32_e64 s[0:1], 16, v0
	v_mov_b32_e32 v1, 0
	v_mov_b32_e32 v2, 0
	s_waitcnt lgkmcnt(0)
	s_barrier
	s_and_saveexec_b64 s[2:3], s[0:1]
; %bb.27:
	ds_read_b64 v[1:2], v4
; %bb.28:
	s_or_b64 exec, exec, s[2:3]
	s_and_saveexec_b64 s[8:9], vcc
	s_cbranch_execz .LBB14_42
; %bb.29:
	s_waitcnt lgkmcnt(0)
	ds_bpermute_b32 v3, v6, v1
	ds_bpermute_b32 v4, v6, v2
	s_waitcnt lgkmcnt(1)
	v_cmp_ne_u32_e32 vcc, 0, v3
	s_and_saveexec_b64 s[12:13], vcc
	s_cbranch_execz .LBB14_31
; %bb.30:
	v_cmp_eq_u32_e32 vcc, 0, v1
	s_waitcnt lgkmcnt(0)
	v_cmp_gt_f32_e64 s[0:1], v2, v4
	v_min_i32_e32 v6, v3, v1
	v_cmp_eq_f32_e64 s[2:3], v2, v4
	v_cndmask_b32_e64 v1, v1, v6, s[2:3]
	s_or_b64 vcc, vcc, s[0:1]
	v_cndmask_b32_e32 v1, v1, v3, vcc
	v_cndmask_b32_e32 v2, v2, v4, vcc
.LBB14_31:
	s_or_b64 exec, exec, s[12:13]
	s_waitcnt lgkmcnt(0)
	ds_bpermute_b32 v4, v7, v1
	ds_bpermute_b32 v6, v7, v2
	v_mov_b32_e32 v3, v2
	s_waitcnt lgkmcnt(1)
	v_cmp_ne_u32_e32 vcc, 0, v4
	s_and_saveexec_b64 s[2:3], vcc
	s_cbranch_execz .LBB14_35
; %bb.32:
	v_cmp_ne_u32_e32 vcc, 0, v1
	s_waitcnt lgkmcnt(0)
	v_cmp_ngt_f32_e64 s[0:1], v2, v6
	s_and_b64 s[12:13], vcc, s[0:1]
	s_and_saveexec_b64 s[0:1], s[12:13]
; %bb.33:
	v_min_i32_e32 v3, v4, v1
	v_cmp_eq_f32_e32 vcc, v2, v6
	v_cndmask_b32_e32 v4, v1, v3, vcc
	v_mov_b32_e32 v6, v2
; %bb.34:
	s_or_b64 exec, exec, s[0:1]
	v_mov_b32_e32 v2, v6
	v_mov_b32_e32 v1, v4
	;; [unrolled: 1-line block ×3, first 2 shown]
.LBB14_35:
	s_or_b64 exec, exec, s[2:3]
	ds_bpermute_b32 v4, v8, v1
	s_waitcnt lgkmcnt(1)
	ds_bpermute_b32 v6, v8, v2
	s_waitcnt lgkmcnt(1)
	v_cmp_ne_u32_e32 vcc, 0, v4
	s_and_saveexec_b64 s[2:3], vcc
	s_cbranch_execz .LBB14_39
; %bb.36:
	v_cmp_ne_u32_e32 vcc, 0, v1
	s_waitcnt lgkmcnt(0)
	v_cmp_ngt_f32_e64 s[0:1], v3, v6
	s_and_b64 s[12:13], vcc, s[0:1]
	v_mov_b32_e32 v7, v6
	s_and_saveexec_b64 s[0:1], s[12:13]
; %bb.37:
	v_min_i32_e32 v4, v4, v1
	v_cmp_eq_f32_e32 vcc, v3, v6
	v_cndmask_b32_e32 v4, v1, v4, vcc
	v_mov_b32_e32 v7, v3
	v_mov_b32_e32 v6, v2
; %bb.38:
	s_or_b64 exec, exec, s[0:1]
	v_mov_b32_e32 v2, v6
	v_mov_b32_e32 v1, v4
	;; [unrolled: 1-line block ×3, first 2 shown]
.LBB14_39:
	s_or_b64 exec, exec, s[2:3]
	ds_bpermute_b32 v4, v5, v1
	ds_bpermute_b32 v5, v5, v2
	s_waitcnt lgkmcnt(1)
	v_cmp_ne_u32_e32 vcc, 0, v4
	s_and_saveexec_b64 s[12:13], vcc
	s_cbranch_execz .LBB14_41
; %bb.40:
	v_cmp_eq_u32_e32 vcc, 0, v1
	s_waitcnt lgkmcnt(0)
	v_cmp_gt_f32_e64 s[0:1], v3, v5
	v_min_i32_e32 v6, v4, v1
	v_cmp_eq_f32_e64 s[2:3], v3, v5
	v_cndmask_b32_e64 v1, v1, v6, s[2:3]
	s_or_b64 vcc, vcc, s[0:1]
	v_cndmask_b32_e32 v2, v2, v5, vcc
	v_cndmask_b32_e32 v1, v1, v4, vcc
.LBB14_41:
	s_or_b64 exec, exec, s[12:13]
.LBB14_42:
	s_or_b64 exec, exec, s[8:9]
	s_mov_b32 s1, 0
	v_cmp_eq_u32_e32 vcc, 0, v0
	s_and_saveexec_b64 s[2:3], vcc
	s_cbranch_execz .LBB14_44
; %bb.43:
	s_load_dwordx2 s[2:3], s[4:5], 0x30
	s_mul_i32 s0, s11, s7
	s_add_i32 s0, s0, s6
	s_lshl_b64 s[0:1], s[0:1], 3
	v_mov_b32_e32 v0, 0
	s_waitcnt lgkmcnt(0)
	s_add_u32 s0, s2, s0
	s_addc_u32 s1, s3, s1
	global_store_dwordx2 v0, v[1:2], s[0:1]
.LBB14_44:
	s_endpgm
	.section	.rodata,"a",@progbits
	.p2align	6, 0x0
	.amdhsa_kernel _ZL32rocblas_iamax_iamin_kernel_part1ILi1024E23rocblas_fetch_amax_aminIfE19rocblas_reduce_aminPK19rocblas_complex_numIfE21rocblas_index_value_tIfEEviiT2_liliPT3_
		.amdhsa_group_segment_fixed_size 512
		.amdhsa_private_segment_fixed_size 0
		.amdhsa_kernarg_size 56
		.amdhsa_user_sgpr_count 6
		.amdhsa_user_sgpr_private_segment_buffer 1
		.amdhsa_user_sgpr_dispatch_ptr 0
		.amdhsa_user_sgpr_queue_ptr 0
		.amdhsa_user_sgpr_kernarg_segment_ptr 1
		.amdhsa_user_sgpr_dispatch_id 0
		.amdhsa_user_sgpr_flat_scratch_init 0
		.amdhsa_user_sgpr_private_segment_size 0
		.amdhsa_uses_dynamic_stack 0
		.amdhsa_system_sgpr_private_segment_wavefront_offset 0
		.amdhsa_system_sgpr_workgroup_id_x 1
		.amdhsa_system_sgpr_workgroup_id_y 0
		.amdhsa_system_sgpr_workgroup_id_z 1
		.amdhsa_system_sgpr_workgroup_info 0
		.amdhsa_system_vgpr_workitem_id 0
		.amdhsa_next_free_vgpr 14
		.amdhsa_next_free_sgpr 16
		.amdhsa_reserve_vcc 1
		.amdhsa_reserve_flat_scratch 0
		.amdhsa_float_round_mode_32 0
		.amdhsa_float_round_mode_16_64 0
		.amdhsa_float_denorm_mode_32 3
		.amdhsa_float_denorm_mode_16_64 3
		.amdhsa_dx10_clamp 1
		.amdhsa_ieee_mode 1
		.amdhsa_fp16_overflow 0
		.amdhsa_exception_fp_ieee_invalid_op 0
		.amdhsa_exception_fp_denorm_src 0
		.amdhsa_exception_fp_ieee_div_zero 0
		.amdhsa_exception_fp_ieee_overflow 0
		.amdhsa_exception_fp_ieee_underflow 0
		.amdhsa_exception_fp_ieee_inexact 0
		.amdhsa_exception_int_div_zero 0
	.end_amdhsa_kernel
	.section	.text._ZL32rocblas_iamax_iamin_kernel_part1ILi1024E23rocblas_fetch_amax_aminIfE19rocblas_reduce_aminPK19rocblas_complex_numIfE21rocblas_index_value_tIfEEviiT2_liliPT3_,"axG",@progbits,_ZL32rocblas_iamax_iamin_kernel_part1ILi1024E23rocblas_fetch_amax_aminIfE19rocblas_reduce_aminPK19rocblas_complex_numIfE21rocblas_index_value_tIfEEviiT2_liliPT3_,comdat
.Lfunc_end14:
	.size	_ZL32rocblas_iamax_iamin_kernel_part1ILi1024E23rocblas_fetch_amax_aminIfE19rocblas_reduce_aminPK19rocblas_complex_numIfE21rocblas_index_value_tIfEEviiT2_liliPT3_, .Lfunc_end14-_ZL32rocblas_iamax_iamin_kernel_part1ILi1024E23rocblas_fetch_amax_aminIfE19rocblas_reduce_aminPK19rocblas_complex_numIfE21rocblas_index_value_tIfEEviiT2_liliPT3_
                                        ; -- End function
	.set _ZL32rocblas_iamax_iamin_kernel_part1ILi1024E23rocblas_fetch_amax_aminIfE19rocblas_reduce_aminPK19rocblas_complex_numIfE21rocblas_index_value_tIfEEviiT2_liliPT3_.num_vgpr, 14
	.set _ZL32rocblas_iamax_iamin_kernel_part1ILi1024E23rocblas_fetch_amax_aminIfE19rocblas_reduce_aminPK19rocblas_complex_numIfE21rocblas_index_value_tIfEEviiT2_liliPT3_.num_agpr, 0
	.set _ZL32rocblas_iamax_iamin_kernel_part1ILi1024E23rocblas_fetch_amax_aminIfE19rocblas_reduce_aminPK19rocblas_complex_numIfE21rocblas_index_value_tIfEEviiT2_liliPT3_.numbered_sgpr, 16
	.set _ZL32rocblas_iamax_iamin_kernel_part1ILi1024E23rocblas_fetch_amax_aminIfE19rocblas_reduce_aminPK19rocblas_complex_numIfE21rocblas_index_value_tIfEEviiT2_liliPT3_.num_named_barrier, 0
	.set _ZL32rocblas_iamax_iamin_kernel_part1ILi1024E23rocblas_fetch_amax_aminIfE19rocblas_reduce_aminPK19rocblas_complex_numIfE21rocblas_index_value_tIfEEviiT2_liliPT3_.private_seg_size, 0
	.set _ZL32rocblas_iamax_iamin_kernel_part1ILi1024E23rocblas_fetch_amax_aminIfE19rocblas_reduce_aminPK19rocblas_complex_numIfE21rocblas_index_value_tIfEEviiT2_liliPT3_.uses_vcc, 1
	.set _ZL32rocblas_iamax_iamin_kernel_part1ILi1024E23rocblas_fetch_amax_aminIfE19rocblas_reduce_aminPK19rocblas_complex_numIfE21rocblas_index_value_tIfEEviiT2_liliPT3_.uses_flat_scratch, 0
	.set _ZL32rocblas_iamax_iamin_kernel_part1ILi1024E23rocblas_fetch_amax_aminIfE19rocblas_reduce_aminPK19rocblas_complex_numIfE21rocblas_index_value_tIfEEviiT2_liliPT3_.has_dyn_sized_stack, 0
	.set _ZL32rocblas_iamax_iamin_kernel_part1ILi1024E23rocblas_fetch_amax_aminIfE19rocblas_reduce_aminPK19rocblas_complex_numIfE21rocblas_index_value_tIfEEviiT2_liliPT3_.has_recursion, 0
	.set _ZL32rocblas_iamax_iamin_kernel_part1ILi1024E23rocblas_fetch_amax_aminIfE19rocblas_reduce_aminPK19rocblas_complex_numIfE21rocblas_index_value_tIfEEviiT2_liliPT3_.has_indirect_call, 0
	.section	.AMDGPU.csdata,"",@progbits
; Kernel info:
; codeLenInByte = 1584
; TotalNumSgprs: 20
; NumVgprs: 14
; ScratchSize: 0
; MemoryBound: 0
; FloatMode: 240
; IeeeMode: 1
; LDSByteSize: 512 bytes/workgroup (compile time only)
; SGPRBlocks: 2
; VGPRBlocks: 3
; NumSGPRsForWavesPerEU: 20
; NumVGPRsForWavesPerEU: 14
; Occupancy: 10
; WaveLimiterHint : 0
; COMPUTE_PGM_RSRC2:SCRATCH_EN: 0
; COMPUTE_PGM_RSRC2:USER_SGPR: 6
; COMPUTE_PGM_RSRC2:TRAP_HANDLER: 0
; COMPUTE_PGM_RSRC2:TGID_X_EN: 1
; COMPUTE_PGM_RSRC2:TGID_Y_EN: 0
; COMPUTE_PGM_RSRC2:TGID_Z_EN: 1
; COMPUTE_PGM_RSRC2:TIDIG_COMP_CNT: 0
	.section	.text._ZL32rocblas_iamax_iamin_kernel_part1ILi1024E23rocblas_fetch_amax_aminIdE19rocblas_reduce_aminPK19rocblas_complex_numIdE21rocblas_index_value_tIdEEviiT2_liliPT3_,"axG",@progbits,_ZL32rocblas_iamax_iamin_kernel_part1ILi1024E23rocblas_fetch_amax_aminIdE19rocblas_reduce_aminPK19rocblas_complex_numIdE21rocblas_index_value_tIdEEviiT2_liliPT3_,comdat
	.globl	_ZL32rocblas_iamax_iamin_kernel_part1ILi1024E23rocblas_fetch_amax_aminIdE19rocblas_reduce_aminPK19rocblas_complex_numIdE21rocblas_index_value_tIdEEviiT2_liliPT3_ ; -- Begin function _ZL32rocblas_iamax_iamin_kernel_part1ILi1024E23rocblas_fetch_amax_aminIdE19rocblas_reduce_aminPK19rocblas_complex_numIdE21rocblas_index_value_tIdEEviiT2_liliPT3_
	.p2align	8
	.type	_ZL32rocblas_iamax_iamin_kernel_part1ILi1024E23rocblas_fetch_amax_aminIdE19rocblas_reduce_aminPK19rocblas_complex_numIdE21rocblas_index_value_tIdEEviiT2_liliPT3_,@function
_ZL32rocblas_iamax_iamin_kernel_part1ILi1024E23rocblas_fetch_amax_aminIdE19rocblas_reduce_aminPK19rocblas_complex_numIdE21rocblas_index_value_tIdEEviiT2_liliPT3_: ; @_ZL32rocblas_iamax_iamin_kernel_part1ILi1024E23rocblas_fetch_amax_aminIdE19rocblas_reduce_aminPK19rocblas_complex_numIdE21rocblas_index_value_tIdEEviiT2_liliPT3_
; %bb.0:
	s_load_dwordx2 s[10:11], s[4:5], 0x0
	v_lshl_or_b32 v1, s6, 10, v0
	v_mov_b32_e32 v2, 0
                                        ; implicit-def: $vgpr3_vgpr4
	s_waitcnt lgkmcnt(0)
	s_ashr_i32 s1, s10, 31
	s_mov_b32 s0, s10
	v_cmp_gt_i64_e32 vcc, s[0:1], v[1:2]
	s_and_saveexec_b64 s[0:1], vcc
	s_cbranch_execz .LBB15_2
; %bb.1:
	s_load_dword s8, s[4:5], 0x18
	s_load_dwordx2 s[2:3], s[4:5], 0x20
	s_load_dwordx4 s[12:15], s[4:5], 0x8
	s_waitcnt lgkmcnt(0)
	s_ashr_i32 s10, s8, 31
	s_mul_i32 s3, s3, s7
	s_mul_hi_u32 s9, s2, s7
	s_add_i32 s3, s9, s3
	v_mad_u64_u32 v[2:3], s[8:9], s8, v1, 0
	s_mul_i32 s2, s2, s7
	s_lshl_b64 s[2:3], s[2:3], 4
	s_add_u32 s8, s12, s2
	s_addc_u32 s9, s13, s3
	v_mad_u64_u32 v[3:4], s[2:3], s10, v1, v[3:4]
	s_lshl_b64 s[2:3], s[14:15], 4
	s_add_u32 s2, s8, s2
	v_lshlrev_b64 v[2:3], 4, v[2:3]
	s_addc_u32 s3, s9, s3
	v_mov_b32_e32 v4, s3
	v_add_co_u32_e32 v2, vcc, s2, v2
	v_addc_co_u32_e32 v3, vcc, v4, v3, vcc
	global_load_dwordx4 v[2:5], v[2:3], off
	s_waitcnt vmcnt(0)
	v_cmp_gt_f64_e32 vcc, 0, v[2:3]
	v_xor_b32_e32 v6, 0x80000000, v3
	v_xor_b32_e32 v7, 0x80000000, v5
	v_cndmask_b32_e32 v3, v3, v6, vcc
	v_cmp_gt_f64_e32 vcc, 0, v[4:5]
	v_cndmask_b32_e32 v5, v5, v7, vcc
	v_add_f64 v[3:4], v[2:3], v[4:5]
	v_add_u32_e32 v2, 1, v1
.LBB15_2:
	s_or_b64 exec, exec, s[0:1]
	v_and_b32_e32 v1, 63, v0
	v_cmp_gt_u32_e32 vcc, 64, v0
	v_lshlrev_b32_e32 v11, 4, v1
	s_and_saveexec_b64 s[0:1], vcc
	s_cbranch_execz .LBB15_4
; %bb.3:
	v_mov_b32_e32 v5, 0
	v_mov_b32_e32 v6, v5
	ds_write_b32 v11, v5
	ds_write_b64 v11, v[5:6] offset:8
.LBB15_4:
	s_or_b64 exec, exec, s[0:1]
	v_mbcnt_lo_u32_b32 v5, -1, 0
	v_mbcnt_hi_u32_b32 v12, -1, v5
	v_mov_b32_e32 v5, 0x80
	v_lshl_or_b32 v5, v12, 2, v5
	ds_bpermute_b32 v9, v5, v2
	ds_bpermute_b32 v7, v5, v3
	;; [unrolled: 1-line block ×3, first 2 shown]
	v_mov_b32_e32 v6, v4
	v_mov_b32_e32 v5, v3
	s_waitcnt lgkmcnt(2)
	v_cmp_ne_u32_e64 s[0:1], 0, v9
	s_waitcnt lgkmcnt(0)
	s_barrier
	s_and_saveexec_b64 s[8:9], s[0:1]
	s_cbranch_execz .LBB15_8
; %bb.5:
	v_cmp_ngt_f64_e64 s[0:1], v[3:4], v[7:8]
	v_cmp_ne_u32_e64 s[2:3], 0, v2
	v_mov_b32_e32 v5, v7
	v_mov_b32_e32 v6, v8
	s_and_b64 s[0:1], s[2:3], s[0:1]
	s_and_saveexec_b64 s[2:3], s[0:1]
	s_cbranch_execz .LBB15_7
; %bb.6:
	v_cmp_eq_f64_e64 s[0:1], v[3:4], v[7:8]
	v_min_i32_e32 v5, v9, v2
	v_mov_b32_e32 v7, v3
	v_mov_b32_e32 v8, v4
	v_cndmask_b32_e64 v9, v2, v5, s[0:1]
	v_mov_b32_e32 v6, v4
	v_mov_b32_e32 v5, v3
.LBB15_7:
	s_or_b64 exec, exec, s[2:3]
	v_mov_b32_e32 v4, v8
	v_mov_b32_e32 v3, v7
	;; [unrolled: 1-line block ×3, first 2 shown]
.LBB15_8:
	s_or_b64 exec, exec, s[8:9]
	v_and_b32_e32 v16, 63, v12
	v_cmp_gt_u32_e64 s[0:1], 48, v16
	v_cndmask_b32_e64 v7, 0, 16, s[0:1]
	v_add_lshl_u32 v8, v7, v12, 2
	ds_bpermute_b32 v13, v8, v2
	ds_bpermute_b32 v7, v8, v3
	;; [unrolled: 1-line block ×3, first 2 shown]
	s_waitcnt lgkmcnt(2)
	v_cmp_ne_u32_e64 s[0:1], 0, v13
	s_and_saveexec_b64 s[8:9], s[0:1]
	s_cbranch_execz .LBB15_12
; %bb.9:
	s_waitcnt lgkmcnt(0)
	v_cmp_ngt_f64_e64 s[0:1], v[5:6], v[7:8]
	v_cmp_ne_u32_e64 s[2:3], 0, v2
	v_mov_b32_e32 v10, v8
	v_mov_b32_e32 v9, v7
	s_and_b64 s[0:1], s[2:3], s[0:1]
	s_and_saveexec_b64 s[2:3], s[0:1]
	s_cbranch_execz .LBB15_11
; %bb.10:
	v_cmp_eq_f64_e64 s[0:1], v[5:6], v[7:8]
	v_min_i32_e32 v9, v13, v2
	v_mov_b32_e32 v7, v3
	v_mov_b32_e32 v8, v4
	v_cndmask_b32_e64 v13, v2, v9, s[0:1]
	v_mov_b32_e32 v10, v6
	v_mov_b32_e32 v9, v5
.LBB15_11:
	s_or_b64 exec, exec, s[2:3]
	v_mov_b32_e32 v5, v9
	v_mov_b32_e32 v4, v8
	v_mov_b32_e32 v3, v7
	v_mov_b32_e32 v2, v13
	v_mov_b32_e32 v6, v10
.LBB15_12:
	s_or_b64 exec, exec, s[8:9]
	v_cmp_gt_u32_e64 s[0:1], 56, v16
	s_waitcnt lgkmcnt(1)
	v_cndmask_b32_e64 v7, 0, 8, s[0:1]
	v_add_lshl_u32 v13, v7, v12, 2
	ds_bpermute_b32 v14, v13, v2
	ds_bpermute_b32 v7, v13, v3
	s_waitcnt lgkmcnt(2)
	ds_bpermute_b32 v8, v13, v4
	s_waitcnt lgkmcnt(2)
	v_cmp_ne_u32_e64 s[0:1], 0, v14
	s_and_saveexec_b64 s[8:9], s[0:1]
	s_cbranch_execz .LBB15_16
; %bb.13:
	s_waitcnt lgkmcnt(0)
	v_cmp_ngt_f64_e64 s[0:1], v[5:6], v[7:8]
	v_cmp_ne_u32_e64 s[2:3], 0, v2
	v_mov_b32_e32 v10, v8
	v_mov_b32_e32 v9, v7
	s_and_b64 s[0:1], s[2:3], s[0:1]
	s_and_saveexec_b64 s[2:3], s[0:1]
	s_cbranch_execz .LBB15_15
; %bb.14:
	v_cmp_eq_f64_e64 s[0:1], v[5:6], v[7:8]
	v_min_i32_e32 v9, v14, v2
	v_mov_b32_e32 v7, v3
	v_mov_b32_e32 v8, v4
	v_cndmask_b32_e64 v14, v2, v9, s[0:1]
	v_mov_b32_e32 v10, v6
	v_mov_b32_e32 v9, v5
.LBB15_15:
	s_or_b64 exec, exec, s[2:3]
	v_mov_b32_e32 v5, v9
	v_mov_b32_e32 v4, v8
	v_mov_b32_e32 v3, v7
	v_mov_b32_e32 v2, v14
	v_mov_b32_e32 v6, v10
.LBB15_16:
	s_or_b64 exec, exec, s[8:9]
	v_cmp_gt_u32_e64 s[0:1], 60, v16
	s_waitcnt lgkmcnt(1)
	v_cndmask_b32_e64 v7, 0, 4, s[0:1]
	v_add_lshl_u32 v14, v7, v12, 2
	ds_bpermute_b32 v15, v14, v2
	ds_bpermute_b32 v7, v14, v3
	s_waitcnt lgkmcnt(2)
	ds_bpermute_b32 v8, v14, v4
	;; [unrolled: 38-line block ×3, first 2 shown]
	s_waitcnt lgkmcnt(2)
	v_cmp_ne_u32_e64 s[0:1], 0, v17
	s_and_saveexec_b64 s[8:9], s[0:1]
	s_cbranch_execz .LBB15_24
; %bb.21:
	s_waitcnt lgkmcnt(0)
	v_cmp_ngt_f64_e64 s[0:1], v[5:6], v[7:8]
	v_cmp_ne_u32_e64 s[2:3], 0, v2
	v_mov_b32_e32 v10, v8
	v_mov_b32_e32 v9, v7
	s_and_b64 s[0:1], s[2:3], s[0:1]
	s_and_saveexec_b64 s[2:3], s[0:1]
	s_cbranch_execz .LBB15_23
; %bb.22:
	v_cmp_eq_f64_e64 s[0:1], v[5:6], v[7:8]
	v_min_i32_e32 v9, v17, v2
	v_mov_b32_e32 v7, v3
	v_mov_b32_e32 v8, v4
	v_cndmask_b32_e64 v17, v2, v9, s[0:1]
	v_mov_b32_e32 v10, v6
	v_mov_b32_e32 v9, v5
.LBB15_23:
	s_or_b64 exec, exec, s[2:3]
	v_mov_b32_e32 v5, v9
	v_mov_b32_e32 v4, v8
	;; [unrolled: 1-line block ×5, first 2 shown]
.LBB15_24:
	s_or_b64 exec, exec, s[8:9]
	v_cmp_ne_u32_e64 s[0:1], 63, v16
	s_waitcnt lgkmcnt(1)
	v_addc_co_u32_e64 v7, s[0:1], 0, v12, s[0:1]
	v_lshlrev_b32_e32 v9, 2, v7
	ds_bpermute_b32 v7, v9, v2
	ds_bpermute_b32 v3, v9, v3
	ds_bpermute_b32 v4, v9, v4
	s_waitcnt lgkmcnt(2)
	v_cmp_ne_u32_e64 s[0:1], 0, v7
	s_and_saveexec_b64 s[12:13], s[0:1]
	s_cbranch_execz .LBB15_26
; %bb.25:
	s_waitcnt lgkmcnt(0)
	v_cmp_gt_f64_e64 s[0:1], v[5:6], v[3:4]
	v_cmp_eq_f64_e64 s[8:9], v[5:6], v[3:4]
	v_cmp_eq_u32_e64 s[2:3], 0, v2
	v_min_i32_e32 v8, v7, v2
	s_or_b64 s[0:1], s[2:3], s[0:1]
	v_cndmask_b32_e64 v2, v2, v8, s[8:9]
	v_cndmask_b32_e64 v2, v2, v7, s[0:1]
	;; [unrolled: 1-line block ×4, first 2 shown]
.LBB15_26:
	s_or_b64 exec, exec, s[12:13]
	v_cmp_eq_u32_e64 s[0:1], 0, v1
	s_and_saveexec_b64 s[2:3], s[0:1]
	s_cbranch_execz .LBB15_28
; %bb.27:
	v_lshrrev_b32_e32 v1, 2, v0
	v_and_b32_e32 v1, 0xf0, v1
	ds_write_b32 v1, v2
	ds_write_b64 v1, v[5:6] offset:8
.LBB15_28:
	s_or_b64 exec, exec, s[2:3]
	v_mov_b32_e32 v1, 0
	v_cmp_gt_u32_e64 s[0:1], 16, v0
	v_mov_b32_e32 v2, 0
	v_mov_b32_e32 v10, 0
	s_waitcnt lgkmcnt(0)
	s_barrier
	s_and_saveexec_b64 s[2:3], s[0:1]
	s_cbranch_execz .LBB15_30
; %bb.29:
	ds_read_b32 v10, v11
	ds_read_b64 v[1:2], v11 offset:8
.LBB15_30:
	s_or_b64 exec, exec, s[2:3]
	s_and_saveexec_b64 s[8:9], vcc
	s_cbranch_execz .LBB15_46
; %bb.31:
	s_waitcnt lgkmcnt(1)
	ds_bpermute_b32 v7, v13, v10
	s_waitcnt lgkmcnt(1)
	ds_bpermute_b32 v5, v13, v1
	ds_bpermute_b32 v6, v13, v2
	v_mov_b32_e32 v4, v2
	v_mov_b32_e32 v3, v1
	s_waitcnt lgkmcnt(2)
	v_cmp_ne_u32_e32 vcc, 0, v7
	s_and_saveexec_b64 s[2:3], vcc
	s_cbranch_execz .LBB15_35
; %bb.32:
	s_waitcnt lgkmcnt(0)
	v_cmp_ngt_f64_e32 vcc, v[1:2], v[5:6]
	v_cmp_ne_u32_e64 s[0:1], 0, v10
	v_mov_b32_e32 v3, v5
	v_mov_b32_e32 v4, v6
	s_and_b64 s[12:13], s[0:1], vcc
	s_and_saveexec_b64 s[0:1], s[12:13]
	s_cbranch_execz .LBB15_34
; %bb.33:
	v_cmp_eq_f64_e32 vcc, v[1:2], v[5:6]
	v_min_i32_e32 v3, v7, v10
	v_mov_b32_e32 v5, v1
	v_mov_b32_e32 v6, v2
	v_cndmask_b32_e32 v7, v10, v3, vcc
	v_mov_b32_e32 v4, v2
	v_mov_b32_e32 v3, v1
.LBB15_34:
	s_or_b64 exec, exec, s[0:1]
	v_mov_b32_e32 v2, v6
	v_mov_b32_e32 v1, v5
	;; [unrolled: 1-line block ×3, first 2 shown]
.LBB15_35:
	s_or_b64 exec, exec, s[2:3]
	ds_bpermute_b32 v11, v14, v10
	s_waitcnt lgkmcnt(2)
	ds_bpermute_b32 v5, v14, v1
	s_waitcnt lgkmcnt(2)
	;; [unrolled: 2-line block ×3, first 2 shown]
	v_cmp_ne_u32_e32 vcc, 0, v11
	s_and_saveexec_b64 s[2:3], vcc
	s_cbranch_execz .LBB15_39
; %bb.36:
	s_waitcnt lgkmcnt(0)
	v_cmp_ngt_f64_e32 vcc, v[3:4], v[5:6]
	v_cmp_ne_u32_e64 s[0:1], 0, v10
	v_mov_b32_e32 v8, v6
	v_mov_b32_e32 v7, v5
	s_and_b64 s[12:13], s[0:1], vcc
	s_and_saveexec_b64 s[0:1], s[12:13]
	s_cbranch_execz .LBB15_38
; %bb.37:
	v_cmp_eq_f64_e32 vcc, v[3:4], v[5:6]
	v_min_i32_e32 v7, v11, v10
	v_mov_b32_e32 v5, v1
	v_mov_b32_e32 v6, v2
	v_cndmask_b32_e32 v11, v10, v7, vcc
	v_mov_b32_e32 v8, v4
	v_mov_b32_e32 v7, v3
.LBB15_38:
	s_or_b64 exec, exec, s[0:1]
	v_mov_b32_e32 v3, v7
	v_mov_b32_e32 v2, v6
	v_mov_b32_e32 v1, v5
	v_mov_b32_e32 v10, v11
	v_mov_b32_e32 v4, v8
.LBB15_39:
	s_or_b64 exec, exec, s[2:3]
	ds_bpermute_b32 v11, v15, v10
	s_waitcnt lgkmcnt(2)
	ds_bpermute_b32 v5, v15, v1
	s_waitcnt lgkmcnt(2)
	;; [unrolled: 2-line block ×3, first 2 shown]
	v_cmp_ne_u32_e32 vcc, 0, v11
	s_and_saveexec_b64 s[2:3], vcc
	s_cbranch_execz .LBB15_43
; %bb.40:
	s_waitcnt lgkmcnt(0)
	v_cmp_ngt_f64_e32 vcc, v[3:4], v[5:6]
	v_cmp_ne_u32_e64 s[0:1], 0, v10
	v_mov_b32_e32 v8, v6
	v_mov_b32_e32 v7, v5
	s_and_b64 s[12:13], s[0:1], vcc
	s_and_saveexec_b64 s[0:1], s[12:13]
	s_cbranch_execz .LBB15_42
; %bb.41:
	v_cmp_eq_f64_e32 vcc, v[3:4], v[5:6]
	v_min_i32_e32 v7, v11, v10
	v_mov_b32_e32 v5, v1
	v_mov_b32_e32 v6, v2
	v_cndmask_b32_e32 v11, v10, v7, vcc
	v_mov_b32_e32 v8, v4
	v_mov_b32_e32 v7, v3
.LBB15_42:
	s_or_b64 exec, exec, s[0:1]
	v_mov_b32_e32 v3, v7
	v_mov_b32_e32 v2, v6
	;; [unrolled: 1-line block ×5, first 2 shown]
.LBB15_43:
	s_or_b64 exec, exec, s[2:3]
	s_waitcnt lgkmcnt(1)
	ds_bpermute_b32 v5, v9, v10
	ds_bpermute_b32 v1, v9, v1
	;; [unrolled: 1-line block ×3, first 2 shown]
	s_waitcnt lgkmcnt(2)
	v_cmp_ne_u32_e32 vcc, 0, v5
	s_and_saveexec_b64 s[12:13], vcc
	s_cbranch_execz .LBB15_45
; %bb.44:
	s_waitcnt lgkmcnt(0)
	v_cmp_gt_f64_e32 vcc, v[3:4], v[1:2]
	v_cmp_eq_f64_e64 s[2:3], v[3:4], v[1:2]
	v_cmp_eq_u32_e64 s[0:1], 0, v10
	v_min_i32_e32 v6, v5, v10
	s_or_b64 vcc, s[0:1], vcc
	v_cndmask_b32_e64 v6, v10, v6, s[2:3]
	v_cndmask_b32_e32 v10, v6, v5, vcc
	v_cndmask_b32_e32 v4, v4, v2, vcc
	;; [unrolled: 1-line block ×3, first 2 shown]
.LBB15_45:
	s_or_b64 exec, exec, s[12:13]
	s_waitcnt lgkmcnt(0)
	v_mov_b32_e32 v1, v3
	v_mov_b32_e32 v2, v4
.LBB15_46:
	s_or_b64 exec, exec, s[8:9]
	s_mov_b32 s1, 0
	v_cmp_eq_u32_e32 vcc, 0, v0
	s_and_saveexec_b64 s[2:3], vcc
	s_cbranch_execz .LBB15_48
; %bb.47:
	s_load_dwordx2 s[2:3], s[4:5], 0x30
	s_mul_i32 s0, s11, s7
	s_add_i32 s0, s0, s6
	s_lshl_b64 s[0:1], s[0:1], 4
	v_mov_b32_e32 v0, 0
	s_waitcnt lgkmcnt(0)
	s_add_u32 s0, s2, s0
	s_addc_u32 s1, s3, s1
	global_store_dword v0, v10, s[0:1]
	global_store_dwordx2 v0, v[1:2], s[0:1] offset:8
.LBB15_48:
	s_endpgm
	.section	.rodata,"a",@progbits
	.p2align	6, 0x0
	.amdhsa_kernel _ZL32rocblas_iamax_iamin_kernel_part1ILi1024E23rocblas_fetch_amax_aminIdE19rocblas_reduce_aminPK19rocblas_complex_numIdE21rocblas_index_value_tIdEEviiT2_liliPT3_
		.amdhsa_group_segment_fixed_size 1024
		.amdhsa_private_segment_fixed_size 0
		.amdhsa_kernarg_size 56
		.amdhsa_user_sgpr_count 6
		.amdhsa_user_sgpr_private_segment_buffer 1
		.amdhsa_user_sgpr_dispatch_ptr 0
		.amdhsa_user_sgpr_queue_ptr 0
		.amdhsa_user_sgpr_kernarg_segment_ptr 1
		.amdhsa_user_sgpr_dispatch_id 0
		.amdhsa_user_sgpr_flat_scratch_init 0
		.amdhsa_user_sgpr_private_segment_size 0
		.amdhsa_uses_dynamic_stack 0
		.amdhsa_system_sgpr_private_segment_wavefront_offset 0
		.amdhsa_system_sgpr_workgroup_id_x 1
		.amdhsa_system_sgpr_workgroup_id_y 0
		.amdhsa_system_sgpr_workgroup_id_z 1
		.amdhsa_system_sgpr_workgroup_info 0
		.amdhsa_system_vgpr_workitem_id 0
		.amdhsa_next_free_vgpr 18
		.amdhsa_next_free_sgpr 16
		.amdhsa_reserve_vcc 1
		.amdhsa_reserve_flat_scratch 0
		.amdhsa_float_round_mode_32 0
		.amdhsa_float_round_mode_16_64 0
		.amdhsa_float_denorm_mode_32 3
		.amdhsa_float_denorm_mode_16_64 3
		.amdhsa_dx10_clamp 1
		.amdhsa_ieee_mode 1
		.amdhsa_fp16_overflow 0
		.amdhsa_exception_fp_ieee_invalid_op 0
		.amdhsa_exception_fp_denorm_src 0
		.amdhsa_exception_fp_ieee_div_zero 0
		.amdhsa_exception_fp_ieee_overflow 0
		.amdhsa_exception_fp_ieee_underflow 0
		.amdhsa_exception_fp_ieee_inexact 0
		.amdhsa_exception_int_div_zero 0
	.end_amdhsa_kernel
	.section	.text._ZL32rocblas_iamax_iamin_kernel_part1ILi1024E23rocblas_fetch_amax_aminIdE19rocblas_reduce_aminPK19rocblas_complex_numIdE21rocblas_index_value_tIdEEviiT2_liliPT3_,"axG",@progbits,_ZL32rocblas_iamax_iamin_kernel_part1ILi1024E23rocblas_fetch_amax_aminIdE19rocblas_reduce_aminPK19rocblas_complex_numIdE21rocblas_index_value_tIdEEviiT2_liliPT3_,comdat
.Lfunc_end15:
	.size	_ZL32rocblas_iamax_iamin_kernel_part1ILi1024E23rocblas_fetch_amax_aminIdE19rocblas_reduce_aminPK19rocblas_complex_numIdE21rocblas_index_value_tIdEEviiT2_liliPT3_, .Lfunc_end15-_ZL32rocblas_iamax_iamin_kernel_part1ILi1024E23rocblas_fetch_amax_aminIdE19rocblas_reduce_aminPK19rocblas_complex_numIdE21rocblas_index_value_tIdEEviiT2_liliPT3_
                                        ; -- End function
	.set _ZL32rocblas_iamax_iamin_kernel_part1ILi1024E23rocblas_fetch_amax_aminIdE19rocblas_reduce_aminPK19rocblas_complex_numIdE21rocblas_index_value_tIdEEviiT2_liliPT3_.num_vgpr, 18
	.set _ZL32rocblas_iamax_iamin_kernel_part1ILi1024E23rocblas_fetch_amax_aminIdE19rocblas_reduce_aminPK19rocblas_complex_numIdE21rocblas_index_value_tIdEEviiT2_liliPT3_.num_agpr, 0
	.set _ZL32rocblas_iamax_iamin_kernel_part1ILi1024E23rocblas_fetch_amax_aminIdE19rocblas_reduce_aminPK19rocblas_complex_numIdE21rocblas_index_value_tIdEEviiT2_liliPT3_.numbered_sgpr, 16
	.set _ZL32rocblas_iamax_iamin_kernel_part1ILi1024E23rocblas_fetch_amax_aminIdE19rocblas_reduce_aminPK19rocblas_complex_numIdE21rocblas_index_value_tIdEEviiT2_liliPT3_.num_named_barrier, 0
	.set _ZL32rocblas_iamax_iamin_kernel_part1ILi1024E23rocblas_fetch_amax_aminIdE19rocblas_reduce_aminPK19rocblas_complex_numIdE21rocblas_index_value_tIdEEviiT2_liliPT3_.private_seg_size, 0
	.set _ZL32rocblas_iamax_iamin_kernel_part1ILi1024E23rocblas_fetch_amax_aminIdE19rocblas_reduce_aminPK19rocblas_complex_numIdE21rocblas_index_value_tIdEEviiT2_liliPT3_.uses_vcc, 1
	.set _ZL32rocblas_iamax_iamin_kernel_part1ILi1024E23rocblas_fetch_amax_aminIdE19rocblas_reduce_aminPK19rocblas_complex_numIdE21rocblas_index_value_tIdEEviiT2_liliPT3_.uses_flat_scratch, 0
	.set _ZL32rocblas_iamax_iamin_kernel_part1ILi1024E23rocblas_fetch_amax_aminIdE19rocblas_reduce_aminPK19rocblas_complex_numIdE21rocblas_index_value_tIdEEviiT2_liliPT3_.has_dyn_sized_stack, 0
	.set _ZL32rocblas_iamax_iamin_kernel_part1ILi1024E23rocblas_fetch_amax_aminIdE19rocblas_reduce_aminPK19rocblas_complex_numIdE21rocblas_index_value_tIdEEviiT2_liliPT3_.has_recursion, 0
	.set _ZL32rocblas_iamax_iamin_kernel_part1ILi1024E23rocblas_fetch_amax_aminIdE19rocblas_reduce_aminPK19rocblas_complex_numIdE21rocblas_index_value_tIdEEviiT2_liliPT3_.has_indirect_call, 0
	.section	.AMDGPU.csdata,"",@progbits
; Kernel info:
; codeLenInByte = 2020
; TotalNumSgprs: 20
; NumVgprs: 18
; ScratchSize: 0
; MemoryBound: 0
; FloatMode: 240
; IeeeMode: 1
; LDSByteSize: 1024 bytes/workgroup (compile time only)
; SGPRBlocks: 2
; VGPRBlocks: 4
; NumSGPRsForWavesPerEU: 20
; NumVGPRsForWavesPerEU: 18
; Occupancy: 10
; WaveLimiterHint : 0
; COMPUTE_PGM_RSRC2:SCRATCH_EN: 0
; COMPUTE_PGM_RSRC2:USER_SGPR: 6
; COMPUTE_PGM_RSRC2:TRAP_HANDLER: 0
; COMPUTE_PGM_RSRC2:TGID_X_EN: 1
; COMPUTE_PGM_RSRC2:TGID_Y_EN: 0
; COMPUTE_PGM_RSRC2:TGID_Z_EN: 1
; COMPUTE_PGM_RSRC2:TIDIG_COMP_CNT: 0
	.section	.text._ZL32rocblas_iamax_iamin_kernel_part1ILi1024E23rocblas_fetch_amax_aminIfE19rocblas_reduce_aminPKPKf21rocblas_index_value_tIfEEviiT2_liliPT3_,"axG",@progbits,_ZL32rocblas_iamax_iamin_kernel_part1ILi1024E23rocblas_fetch_amax_aminIfE19rocblas_reduce_aminPKPKf21rocblas_index_value_tIfEEviiT2_liliPT3_,comdat
	.globl	_ZL32rocblas_iamax_iamin_kernel_part1ILi1024E23rocblas_fetch_amax_aminIfE19rocblas_reduce_aminPKPKf21rocblas_index_value_tIfEEviiT2_liliPT3_ ; -- Begin function _ZL32rocblas_iamax_iamin_kernel_part1ILi1024E23rocblas_fetch_amax_aminIfE19rocblas_reduce_aminPKPKf21rocblas_index_value_tIfEEviiT2_liliPT3_
	.p2align	8
	.type	_ZL32rocblas_iamax_iamin_kernel_part1ILi1024E23rocblas_fetch_amax_aminIfE19rocblas_reduce_aminPKPKf21rocblas_index_value_tIfEEviiT2_liliPT3_,@function
_ZL32rocblas_iamax_iamin_kernel_part1ILi1024E23rocblas_fetch_amax_aminIfE19rocblas_reduce_aminPKPKf21rocblas_index_value_tIfEEviiT2_liliPT3_: ; @_ZL32rocblas_iamax_iamin_kernel_part1ILi1024E23rocblas_fetch_amax_aminIfE19rocblas_reduce_aminPKPKf21rocblas_index_value_tIfEEviiT2_liliPT3_
; %bb.0:
	s_load_dwordx2 s[12:13], s[4:5], 0x0
	v_lshl_or_b32 v1, s6, 10, v0
	v_mov_b32_e32 v2, 0
	s_mov_b32 s10, s7
                                        ; implicit-def: $vgpr3
	s_waitcnt lgkmcnt(0)
	s_ashr_i32 s1, s12, 31
	s_mov_b32 s0, s12
	v_cmp_gt_i64_e32 vcc, s[0:1], v[1:2]
	s_and_saveexec_b64 s[0:1], vcc
	s_cbranch_execz .LBB16_2
; %bb.1:
	s_load_dword s7, s[4:5], 0x18
	s_load_dwordx4 s[16:19], s[4:5], 0x8
	s_mov_b32 s11, 0
	s_lshl_b64 s[2:3], s[10:11], 3
	s_waitcnt lgkmcnt(0)
	s_ashr_i32 s11, s7, 31
	v_mad_u64_u32 v[2:3], s[8:9], s7, v1, 0
	s_add_u32 s2, s16, s2
	s_addc_u32 s3, s17, s3
	s_load_dwordx2 s[2:3], s[2:3], 0x0
	v_mad_u64_u32 v[3:4], s[8:9], s11, v1, v[3:4]
	s_lshl_b64 s[8:9], s[18:19], 2
	s_waitcnt lgkmcnt(0)
	s_add_u32 s2, s2, s8
	v_lshlrev_b64 v[2:3], 2, v[2:3]
	s_addc_u32 s3, s3, s9
	v_mov_b32_e32 v4, s3
	v_add_co_u32_e32 v2, vcc, s2, v2
	v_addc_co_u32_e32 v3, vcc, v4, v3, vcc
	flat_load_dword v3, v[2:3]
	v_add_u32_e32 v2, 1, v1
	s_waitcnt vmcnt(0) lgkmcnt(0)
	v_cmp_gt_f32_e32 vcc, 0, v3
	v_cndmask_b32_e64 v3, v3, -v3, vcc
.LBB16_2:
	s_or_b64 exec, exec, s[0:1]
	v_and_b32_e32 v1, 63, v0
	v_cmp_gt_u32_e32 vcc, 64, v0
	v_lshlrev_b32_e32 v4, 3, v1
	s_and_saveexec_b64 s[0:1], vcc
; %bb.3:
	v_mov_b32_e32 v5, 0
	v_mov_b32_e32 v6, v5
	ds_write_b64 v4, v[5:6]
; %bb.4:
	s_or_b64 exec, exec, s[0:1]
	v_mbcnt_lo_u32_b32 v5, -1, 0
	v_mbcnt_hi_u32_b32 v5, -1, v5
	v_mov_b32_e32 v6, 0x80
	v_lshl_or_b32 v7, v5, 2, v6
	ds_bpermute_b32 v6, v7, v2
	ds_bpermute_b32 v7, v7, v3
	s_waitcnt lgkmcnt(0)
	s_barrier
	v_cmp_ne_u32_e64 s[0:1], 0, v6
	s_and_saveexec_b64 s[14:15], s[0:1]
; %bb.5:
	v_cmp_eq_u32_e64 s[0:1], 0, v2
	v_cmp_gt_f32_e64 s[2:3], v3, v7
	v_min_i32_e32 v8, v6, v2
	v_cmp_eq_f32_e64 s[8:9], v3, v7
	v_cndmask_b32_e64 v2, v2, v8, s[8:9]
	s_or_b64 s[0:1], s[0:1], s[2:3]
	v_cndmask_b32_e64 v2, v2, v6, s[0:1]
	v_cndmask_b32_e64 v3, v3, v7, s[0:1]
; %bb.6:
	s_or_b64 exec, exec, s[14:15]
	v_and_b32_e32 v9, 63, v5
	v_cmp_gt_u32_e64 s[0:1], 48, v9
	v_cndmask_b32_e64 v6, 0, 16, s[0:1]
	v_add_lshl_u32 v7, v6, v5, 2
	ds_bpermute_b32 v6, v7, v2
	ds_bpermute_b32 v7, v7, v3
	v_mov_b32_e32 v10, v3
	s_waitcnt lgkmcnt(1)
	v_cmp_ne_u32_e64 s[0:1], 0, v6
	s_and_saveexec_b64 s[8:9], s[0:1]
	s_cbranch_execz .LBB16_10
; %bb.7:
	v_cmp_ne_u32_e64 s[0:1], 0, v2
	s_waitcnt lgkmcnt(0)
	v_cmp_ngt_f32_e64 s[2:3], v3, v7
	s_and_b64 s[0:1], s[0:1], s[2:3]
	s_and_saveexec_b64 s[2:3], s[0:1]
; %bb.8:
	v_min_i32_e32 v6, v6, v2
	v_cmp_eq_f32_e64 s[0:1], v3, v7
	v_cndmask_b32_e64 v6, v2, v6, s[0:1]
	v_mov_b32_e32 v7, v3
; %bb.9:
	s_or_b64 exec, exec, s[2:3]
	v_mov_b32_e32 v3, v7
	v_mov_b32_e32 v2, v6
	;; [unrolled: 1-line block ×3, first 2 shown]
.LBB16_10:
	s_or_b64 exec, exec, s[8:9]
	v_cmp_gt_u32_e64 s[0:1], 56, v9
	v_cndmask_b32_e64 v6, 0, 8, s[0:1]
	v_add_lshl_u32 v6, v6, v5, 2
	s_waitcnt lgkmcnt(0)
	ds_bpermute_b32 v7, v6, v2
	ds_bpermute_b32 v8, v6, v3
	s_waitcnt lgkmcnt(1)
	v_cmp_ne_u32_e64 s[0:1], 0, v7
	s_and_saveexec_b64 s[8:9], s[0:1]
	s_cbranch_execz .LBB16_14
; %bb.11:
	v_cmp_ne_u32_e64 s[0:1], 0, v2
	s_waitcnt lgkmcnt(0)
	v_cmp_ngt_f32_e64 s[2:3], v10, v8
	s_and_b64 s[0:1], s[0:1], s[2:3]
	v_mov_b32_e32 v11, v8
	s_and_saveexec_b64 s[2:3], s[0:1]
; %bb.12:
	v_min_i32_e32 v7, v7, v2
	v_cmp_eq_f32_e64 s[0:1], v10, v8
	v_cndmask_b32_e64 v7, v2, v7, s[0:1]
	v_mov_b32_e32 v11, v10
	v_mov_b32_e32 v8, v3
; %bb.13:
	s_or_b64 exec, exec, s[2:3]
	v_mov_b32_e32 v3, v8
	v_mov_b32_e32 v2, v7
	v_mov_b32_e32 v10, v11
.LBB16_14:
	s_or_b64 exec, exec, s[8:9]
	v_cmp_gt_u32_e64 s[0:1], 60, v9
	v_cndmask_b32_e64 v7, 0, 4, s[0:1]
	v_add_lshl_u32 v7, v7, v5, 2
	s_waitcnt lgkmcnt(0)
	ds_bpermute_b32 v8, v7, v2
	ds_bpermute_b32 v11, v7, v3
	s_waitcnt lgkmcnt(1)
	v_cmp_ne_u32_e64 s[0:1], 0, v8
	s_and_saveexec_b64 s[8:9], s[0:1]
	s_cbranch_execz .LBB16_18
; %bb.15:
	v_cmp_ne_u32_e64 s[0:1], 0, v2
	s_waitcnt lgkmcnt(0)
	v_cmp_ngt_f32_e64 s[2:3], v10, v11
	s_and_b64 s[0:1], s[0:1], s[2:3]
	v_mov_b32_e32 v12, v11
	s_and_saveexec_b64 s[2:3], s[0:1]
; %bb.16:
	v_min_i32_e32 v8, v8, v2
	v_cmp_eq_f32_e64 s[0:1], v10, v11
	v_cndmask_b32_e64 v8, v2, v8, s[0:1]
	v_mov_b32_e32 v12, v10
	v_mov_b32_e32 v11, v3
; %bb.17:
	s_or_b64 exec, exec, s[2:3]
	v_mov_b32_e32 v3, v11
	v_mov_b32_e32 v2, v8
	v_mov_b32_e32 v10, v12
.LBB16_18:
	s_or_b64 exec, exec, s[8:9]
	v_cmp_gt_u32_e64 s[0:1], 62, v9
	v_cndmask_b32_e64 v8, 0, 2, s[0:1]
	v_add_lshl_u32 v8, v8, v5, 2
	s_waitcnt lgkmcnt(0)
	ds_bpermute_b32 v11, v8, v2
	ds_bpermute_b32 v12, v8, v3
	s_waitcnt lgkmcnt(1)
	v_cmp_ne_u32_e64 s[0:1], 0, v11
	s_and_saveexec_b64 s[8:9], s[0:1]
	s_cbranch_execz .LBB16_22
; %bb.19:
	v_cmp_ne_u32_e64 s[0:1], 0, v2
	s_waitcnt lgkmcnt(0)
	v_cmp_ngt_f32_e64 s[2:3], v10, v12
	s_and_b64 s[0:1], s[0:1], s[2:3]
	v_mov_b32_e32 v13, v12
	s_and_saveexec_b64 s[2:3], s[0:1]
; %bb.20:
	v_min_i32_e32 v11, v11, v2
	v_cmp_eq_f32_e64 s[0:1], v10, v12
	v_cndmask_b32_e64 v11, v2, v11, s[0:1]
	v_mov_b32_e32 v13, v10
	v_mov_b32_e32 v12, v3
; %bb.21:
	s_or_b64 exec, exec, s[2:3]
	v_mov_b32_e32 v3, v12
	v_mov_b32_e32 v2, v11
	v_mov_b32_e32 v10, v13
.LBB16_22:
	s_or_b64 exec, exec, s[8:9]
	v_cmp_ne_u32_e64 s[0:1], 63, v9
	v_addc_co_u32_e64 v5, s[0:1], 0, v5, s[0:1]
	v_lshlrev_b32_e32 v5, 2, v5
	ds_bpermute_b32 v9, v5, v2
	ds_bpermute_b32 v11, v5, v3
	s_waitcnt lgkmcnt(1)
	v_cmp_ne_u32_e64 s[0:1], 0, v9
	s_and_saveexec_b64 s[14:15], s[0:1]
	s_cbranch_execz .LBB16_24
; %bb.23:
	v_cmp_eq_u32_e64 s[0:1], 0, v2
	s_waitcnt lgkmcnt(0)
	v_cmp_gt_f32_e64 s[2:3], v10, v11
	v_min_i32_e32 v12, v9, v2
	v_cmp_eq_f32_e64 s[8:9], v10, v11
	v_cndmask_b32_e64 v2, v2, v12, s[8:9]
	s_or_b64 s[0:1], s[0:1], s[2:3]
	v_cndmask_b32_e64 v3, v3, v11, s[0:1]
	v_cndmask_b32_e64 v2, v2, v9, s[0:1]
.LBB16_24:
	s_or_b64 exec, exec, s[14:15]
	v_cmp_eq_u32_e64 s[0:1], 0, v1
	s_and_saveexec_b64 s[2:3], s[0:1]
; %bb.25:
	v_lshrrev_b32_e32 v1, 3, v0
	v_and_b32_e32 v1, 0x78, v1
	ds_write_b64 v1, v[2:3]
; %bb.26:
	s_or_b64 exec, exec, s[2:3]
	v_cmp_gt_u32_e64 s[0:1], 16, v0
	v_mov_b32_e32 v1, 0
	v_mov_b32_e32 v2, 0
	s_waitcnt lgkmcnt(0)
	s_barrier
	s_and_saveexec_b64 s[2:3], s[0:1]
; %bb.27:
	ds_read_b64 v[1:2], v4
; %bb.28:
	s_or_b64 exec, exec, s[2:3]
	s_and_saveexec_b64 s[8:9], vcc
	s_cbranch_execz .LBB16_42
; %bb.29:
	s_waitcnt lgkmcnt(0)
	ds_bpermute_b32 v3, v6, v1
	ds_bpermute_b32 v4, v6, v2
	s_waitcnt lgkmcnt(1)
	v_cmp_ne_u32_e32 vcc, 0, v3
	s_and_saveexec_b64 s[14:15], vcc
	s_cbranch_execz .LBB16_31
; %bb.30:
	v_cmp_eq_u32_e32 vcc, 0, v1
	s_waitcnt lgkmcnt(0)
	v_cmp_gt_f32_e64 s[0:1], v2, v4
	v_min_i32_e32 v6, v3, v1
	v_cmp_eq_f32_e64 s[2:3], v2, v4
	v_cndmask_b32_e64 v1, v1, v6, s[2:3]
	s_or_b64 vcc, vcc, s[0:1]
	v_cndmask_b32_e32 v1, v1, v3, vcc
	v_cndmask_b32_e32 v2, v2, v4, vcc
.LBB16_31:
	s_or_b64 exec, exec, s[14:15]
	s_waitcnt lgkmcnt(0)
	ds_bpermute_b32 v4, v7, v1
	ds_bpermute_b32 v6, v7, v2
	v_mov_b32_e32 v3, v2
	s_waitcnt lgkmcnt(1)
	v_cmp_ne_u32_e32 vcc, 0, v4
	s_and_saveexec_b64 s[2:3], vcc
	s_cbranch_execz .LBB16_35
; %bb.32:
	v_cmp_ne_u32_e32 vcc, 0, v1
	s_waitcnt lgkmcnt(0)
	v_cmp_ngt_f32_e64 s[0:1], v2, v6
	s_and_b64 s[14:15], vcc, s[0:1]
	s_and_saveexec_b64 s[0:1], s[14:15]
; %bb.33:
	v_min_i32_e32 v3, v4, v1
	v_cmp_eq_f32_e32 vcc, v2, v6
	v_cndmask_b32_e32 v4, v1, v3, vcc
	v_mov_b32_e32 v6, v2
; %bb.34:
	s_or_b64 exec, exec, s[0:1]
	v_mov_b32_e32 v2, v6
	v_mov_b32_e32 v1, v4
	;; [unrolled: 1-line block ×3, first 2 shown]
.LBB16_35:
	s_or_b64 exec, exec, s[2:3]
	ds_bpermute_b32 v4, v8, v1
	s_waitcnt lgkmcnt(1)
	ds_bpermute_b32 v6, v8, v2
	s_waitcnt lgkmcnt(1)
	v_cmp_ne_u32_e32 vcc, 0, v4
	s_and_saveexec_b64 s[2:3], vcc
	s_cbranch_execz .LBB16_39
; %bb.36:
	v_cmp_ne_u32_e32 vcc, 0, v1
	s_waitcnt lgkmcnt(0)
	v_cmp_ngt_f32_e64 s[0:1], v3, v6
	s_and_b64 s[14:15], vcc, s[0:1]
	v_mov_b32_e32 v7, v6
	s_and_saveexec_b64 s[0:1], s[14:15]
; %bb.37:
	v_min_i32_e32 v4, v4, v1
	v_cmp_eq_f32_e32 vcc, v3, v6
	v_cndmask_b32_e32 v4, v1, v4, vcc
	v_mov_b32_e32 v7, v3
	v_mov_b32_e32 v6, v2
; %bb.38:
	s_or_b64 exec, exec, s[0:1]
	v_mov_b32_e32 v2, v6
	v_mov_b32_e32 v1, v4
	;; [unrolled: 1-line block ×3, first 2 shown]
.LBB16_39:
	s_or_b64 exec, exec, s[2:3]
	ds_bpermute_b32 v4, v5, v1
	ds_bpermute_b32 v5, v5, v2
	s_waitcnt lgkmcnt(1)
	v_cmp_ne_u32_e32 vcc, 0, v4
	s_and_saveexec_b64 s[14:15], vcc
	s_cbranch_execz .LBB16_41
; %bb.40:
	v_cmp_eq_u32_e32 vcc, 0, v1
	s_waitcnt lgkmcnt(0)
	v_cmp_gt_f32_e64 s[0:1], v3, v5
	v_min_i32_e32 v6, v4, v1
	v_cmp_eq_f32_e64 s[2:3], v3, v5
	v_cndmask_b32_e64 v1, v1, v6, s[2:3]
	s_or_b64 vcc, vcc, s[0:1]
	v_cndmask_b32_e32 v2, v2, v5, vcc
	v_cndmask_b32_e32 v1, v1, v4, vcc
.LBB16_41:
	s_or_b64 exec, exec, s[14:15]
.LBB16_42:
	s_or_b64 exec, exec, s[8:9]
	s_mov_b32 s1, 0
	v_cmp_eq_u32_e32 vcc, 0, v0
	s_and_saveexec_b64 s[2:3], vcc
	s_cbranch_execz .LBB16_44
; %bb.43:
	s_load_dwordx2 s[2:3], s[4:5], 0x30
	s_mul_i32 s0, s13, s10
	s_add_i32 s0, s0, s6
	s_lshl_b64 s[0:1], s[0:1], 3
	v_mov_b32_e32 v0, 0
	s_waitcnt lgkmcnt(0)
	s_add_u32 s0, s2, s0
	s_addc_u32 s1, s3, s1
	global_store_dwordx2 v0, v[1:2], s[0:1]
.LBB16_44:
	s_endpgm
	.section	.rodata,"a",@progbits
	.p2align	6, 0x0
	.amdhsa_kernel _ZL32rocblas_iamax_iamin_kernel_part1ILi1024E23rocblas_fetch_amax_aminIfE19rocblas_reduce_aminPKPKf21rocblas_index_value_tIfEEviiT2_liliPT3_
		.amdhsa_group_segment_fixed_size 512
		.amdhsa_private_segment_fixed_size 0
		.amdhsa_kernarg_size 56
		.amdhsa_user_sgpr_count 6
		.amdhsa_user_sgpr_private_segment_buffer 1
		.amdhsa_user_sgpr_dispatch_ptr 0
		.amdhsa_user_sgpr_queue_ptr 0
		.amdhsa_user_sgpr_kernarg_segment_ptr 1
		.amdhsa_user_sgpr_dispatch_id 0
		.amdhsa_user_sgpr_flat_scratch_init 0
		.amdhsa_user_sgpr_private_segment_size 0
		.amdhsa_uses_dynamic_stack 0
		.amdhsa_system_sgpr_private_segment_wavefront_offset 0
		.amdhsa_system_sgpr_workgroup_id_x 1
		.amdhsa_system_sgpr_workgroup_id_y 0
		.amdhsa_system_sgpr_workgroup_id_z 1
		.amdhsa_system_sgpr_workgroup_info 0
		.amdhsa_system_vgpr_workitem_id 0
		.amdhsa_next_free_vgpr 14
		.amdhsa_next_free_sgpr 20
		.amdhsa_reserve_vcc 1
		.amdhsa_reserve_flat_scratch 0
		.amdhsa_float_round_mode_32 0
		.amdhsa_float_round_mode_16_64 0
		.amdhsa_float_denorm_mode_32 3
		.amdhsa_float_denorm_mode_16_64 3
		.amdhsa_dx10_clamp 1
		.amdhsa_ieee_mode 1
		.amdhsa_fp16_overflow 0
		.amdhsa_exception_fp_ieee_invalid_op 0
		.amdhsa_exception_fp_denorm_src 0
		.amdhsa_exception_fp_ieee_div_zero 0
		.amdhsa_exception_fp_ieee_overflow 0
		.amdhsa_exception_fp_ieee_underflow 0
		.amdhsa_exception_fp_ieee_inexact 0
		.amdhsa_exception_int_div_zero 0
	.end_amdhsa_kernel
	.section	.text._ZL32rocblas_iamax_iamin_kernel_part1ILi1024E23rocblas_fetch_amax_aminIfE19rocblas_reduce_aminPKPKf21rocblas_index_value_tIfEEviiT2_liliPT3_,"axG",@progbits,_ZL32rocblas_iamax_iamin_kernel_part1ILi1024E23rocblas_fetch_amax_aminIfE19rocblas_reduce_aminPKPKf21rocblas_index_value_tIfEEviiT2_liliPT3_,comdat
.Lfunc_end16:
	.size	_ZL32rocblas_iamax_iamin_kernel_part1ILi1024E23rocblas_fetch_amax_aminIfE19rocblas_reduce_aminPKPKf21rocblas_index_value_tIfEEviiT2_liliPT3_, .Lfunc_end16-_ZL32rocblas_iamax_iamin_kernel_part1ILi1024E23rocblas_fetch_amax_aminIfE19rocblas_reduce_aminPKPKf21rocblas_index_value_tIfEEviiT2_liliPT3_
                                        ; -- End function
	.set _ZL32rocblas_iamax_iamin_kernel_part1ILi1024E23rocblas_fetch_amax_aminIfE19rocblas_reduce_aminPKPKf21rocblas_index_value_tIfEEviiT2_liliPT3_.num_vgpr, 14
	.set _ZL32rocblas_iamax_iamin_kernel_part1ILi1024E23rocblas_fetch_amax_aminIfE19rocblas_reduce_aminPKPKf21rocblas_index_value_tIfEEviiT2_liliPT3_.num_agpr, 0
	.set _ZL32rocblas_iamax_iamin_kernel_part1ILi1024E23rocblas_fetch_amax_aminIfE19rocblas_reduce_aminPKPKf21rocblas_index_value_tIfEEviiT2_liliPT3_.numbered_sgpr, 20
	.set _ZL32rocblas_iamax_iamin_kernel_part1ILi1024E23rocblas_fetch_amax_aminIfE19rocblas_reduce_aminPKPKf21rocblas_index_value_tIfEEviiT2_liliPT3_.num_named_barrier, 0
	.set _ZL32rocblas_iamax_iamin_kernel_part1ILi1024E23rocblas_fetch_amax_aminIfE19rocblas_reduce_aminPKPKf21rocblas_index_value_tIfEEviiT2_liliPT3_.private_seg_size, 0
	.set _ZL32rocblas_iamax_iamin_kernel_part1ILi1024E23rocblas_fetch_amax_aminIfE19rocblas_reduce_aminPKPKf21rocblas_index_value_tIfEEviiT2_liliPT3_.uses_vcc, 1
	.set _ZL32rocblas_iamax_iamin_kernel_part1ILi1024E23rocblas_fetch_amax_aminIfE19rocblas_reduce_aminPKPKf21rocblas_index_value_tIfEEviiT2_liliPT3_.uses_flat_scratch, 0
	.set _ZL32rocblas_iamax_iamin_kernel_part1ILi1024E23rocblas_fetch_amax_aminIfE19rocblas_reduce_aminPKPKf21rocblas_index_value_tIfEEviiT2_liliPT3_.has_dyn_sized_stack, 0
	.set _ZL32rocblas_iamax_iamin_kernel_part1ILi1024E23rocblas_fetch_amax_aminIfE19rocblas_reduce_aminPKPKf21rocblas_index_value_tIfEEviiT2_liliPT3_.has_recursion, 0
	.set _ZL32rocblas_iamax_iamin_kernel_part1ILi1024E23rocblas_fetch_amax_aminIfE19rocblas_reduce_aminPKPKf21rocblas_index_value_tIfEEviiT2_liliPT3_.has_indirect_call, 0
	.section	.AMDGPU.csdata,"",@progbits
; Kernel info:
; codeLenInByte = 1564
; TotalNumSgprs: 24
; NumVgprs: 14
; ScratchSize: 0
; MemoryBound: 0
; FloatMode: 240
; IeeeMode: 1
; LDSByteSize: 512 bytes/workgroup (compile time only)
; SGPRBlocks: 2
; VGPRBlocks: 3
; NumSGPRsForWavesPerEU: 24
; NumVGPRsForWavesPerEU: 14
; Occupancy: 10
; WaveLimiterHint : 1
; COMPUTE_PGM_RSRC2:SCRATCH_EN: 0
; COMPUTE_PGM_RSRC2:USER_SGPR: 6
; COMPUTE_PGM_RSRC2:TRAP_HANDLER: 0
; COMPUTE_PGM_RSRC2:TGID_X_EN: 1
; COMPUTE_PGM_RSRC2:TGID_Y_EN: 0
; COMPUTE_PGM_RSRC2:TGID_Z_EN: 1
; COMPUTE_PGM_RSRC2:TIDIG_COMP_CNT: 0
	.section	.text._ZL32rocblas_iamax_iamin_kernel_part1ILi1024E23rocblas_fetch_amax_aminIdE19rocblas_reduce_aminPKPKd21rocblas_index_value_tIdEEviiT2_liliPT3_,"axG",@progbits,_ZL32rocblas_iamax_iamin_kernel_part1ILi1024E23rocblas_fetch_amax_aminIdE19rocblas_reduce_aminPKPKd21rocblas_index_value_tIdEEviiT2_liliPT3_,comdat
	.globl	_ZL32rocblas_iamax_iamin_kernel_part1ILi1024E23rocblas_fetch_amax_aminIdE19rocblas_reduce_aminPKPKd21rocblas_index_value_tIdEEviiT2_liliPT3_ ; -- Begin function _ZL32rocblas_iamax_iamin_kernel_part1ILi1024E23rocblas_fetch_amax_aminIdE19rocblas_reduce_aminPKPKd21rocblas_index_value_tIdEEviiT2_liliPT3_
	.p2align	8
	.type	_ZL32rocblas_iamax_iamin_kernel_part1ILi1024E23rocblas_fetch_amax_aminIdE19rocblas_reduce_aminPKPKd21rocblas_index_value_tIdEEviiT2_liliPT3_,@function
_ZL32rocblas_iamax_iamin_kernel_part1ILi1024E23rocblas_fetch_amax_aminIdE19rocblas_reduce_aminPKPKd21rocblas_index_value_tIdEEviiT2_liliPT3_: ; @_ZL32rocblas_iamax_iamin_kernel_part1ILi1024E23rocblas_fetch_amax_aminIdE19rocblas_reduce_aminPKPKd21rocblas_index_value_tIdEEviiT2_liliPT3_
; %bb.0:
	s_load_dwordx2 s[12:13], s[4:5], 0x0
	v_lshl_or_b32 v1, s6, 10, v0
	v_mov_b32_e32 v2, 0
	s_mov_b32 s10, s7
                                        ; implicit-def: $vgpr3_vgpr4
	s_waitcnt lgkmcnt(0)
	s_ashr_i32 s1, s12, 31
	s_mov_b32 s0, s12
	v_cmp_gt_i64_e32 vcc, s[0:1], v[1:2]
	s_and_saveexec_b64 s[0:1], vcc
	s_cbranch_execz .LBB17_2
; %bb.1:
	s_load_dword s7, s[4:5], 0x18
	s_load_dwordx4 s[16:19], s[4:5], 0x8
	s_mov_b32 s11, 0
	s_lshl_b64 s[2:3], s[10:11], 3
	s_waitcnt lgkmcnt(0)
	s_ashr_i32 s11, s7, 31
	v_mad_u64_u32 v[2:3], s[8:9], s7, v1, 0
	s_add_u32 s2, s16, s2
	s_addc_u32 s3, s17, s3
	s_load_dwordx2 s[2:3], s[2:3], 0x0
	v_mad_u64_u32 v[3:4], s[8:9], s11, v1, v[3:4]
	s_lshl_b64 s[8:9], s[18:19], 3
	s_waitcnt lgkmcnt(0)
	s_add_u32 s2, s2, s8
	v_lshlrev_b64 v[2:3], 3, v[2:3]
	s_addc_u32 s3, s3, s9
	v_mov_b32_e32 v4, s3
	v_add_co_u32_e32 v2, vcc, s2, v2
	v_addc_co_u32_e32 v3, vcc, v4, v3, vcc
	flat_load_dwordx2 v[3:4], v[2:3]
	v_add_u32_e32 v2, 1, v1
	s_waitcnt vmcnt(0) lgkmcnt(0)
	v_cmp_gt_f64_e32 vcc, 0, v[3:4]
	v_xor_b32_e32 v1, 0x80000000, v4
	v_cndmask_b32_e32 v4, v4, v1, vcc
.LBB17_2:
	s_or_b64 exec, exec, s[0:1]
	v_and_b32_e32 v1, 63, v0
	v_cmp_gt_u32_e32 vcc, 64, v0
	v_lshlrev_b32_e32 v11, 4, v1
	s_and_saveexec_b64 s[0:1], vcc
	s_cbranch_execz .LBB17_4
; %bb.3:
	v_mov_b32_e32 v5, 0
	v_mov_b32_e32 v6, v5
	ds_write_b32 v11, v5
	ds_write_b64 v11, v[5:6] offset:8
.LBB17_4:
	s_or_b64 exec, exec, s[0:1]
	v_mbcnt_lo_u32_b32 v5, -1, 0
	v_mbcnt_hi_u32_b32 v12, -1, v5
	v_mov_b32_e32 v5, 0x80
	v_lshl_or_b32 v5, v12, 2, v5
	ds_bpermute_b32 v9, v5, v2
	ds_bpermute_b32 v7, v5, v3
	;; [unrolled: 1-line block ×3, first 2 shown]
	v_mov_b32_e32 v6, v4
	v_mov_b32_e32 v5, v3
	s_waitcnt lgkmcnt(2)
	v_cmp_ne_u32_e64 s[0:1], 0, v9
	s_waitcnt lgkmcnt(0)
	s_barrier
	s_and_saveexec_b64 s[8:9], s[0:1]
	s_cbranch_execz .LBB17_8
; %bb.5:
	v_cmp_ngt_f64_e64 s[0:1], v[3:4], v[7:8]
	v_cmp_ne_u32_e64 s[2:3], 0, v2
	v_mov_b32_e32 v5, v7
	v_mov_b32_e32 v6, v8
	s_and_b64 s[0:1], s[2:3], s[0:1]
	s_and_saveexec_b64 s[2:3], s[0:1]
	s_cbranch_execz .LBB17_7
; %bb.6:
	v_cmp_eq_f64_e64 s[0:1], v[3:4], v[7:8]
	v_min_i32_e32 v5, v9, v2
	v_mov_b32_e32 v7, v3
	v_mov_b32_e32 v8, v4
	v_cndmask_b32_e64 v9, v2, v5, s[0:1]
	v_mov_b32_e32 v6, v4
	v_mov_b32_e32 v5, v3
.LBB17_7:
	s_or_b64 exec, exec, s[2:3]
	v_mov_b32_e32 v4, v8
	v_mov_b32_e32 v3, v7
	;; [unrolled: 1-line block ×3, first 2 shown]
.LBB17_8:
	s_or_b64 exec, exec, s[8:9]
	v_and_b32_e32 v16, 63, v12
	v_cmp_gt_u32_e64 s[0:1], 48, v16
	v_cndmask_b32_e64 v7, 0, 16, s[0:1]
	v_add_lshl_u32 v8, v7, v12, 2
	ds_bpermute_b32 v13, v8, v2
	ds_bpermute_b32 v7, v8, v3
	;; [unrolled: 1-line block ×3, first 2 shown]
	s_waitcnt lgkmcnt(2)
	v_cmp_ne_u32_e64 s[0:1], 0, v13
	s_and_saveexec_b64 s[8:9], s[0:1]
	s_cbranch_execz .LBB17_12
; %bb.9:
	s_waitcnt lgkmcnt(0)
	v_cmp_ngt_f64_e64 s[0:1], v[5:6], v[7:8]
	v_cmp_ne_u32_e64 s[2:3], 0, v2
	v_mov_b32_e32 v10, v8
	v_mov_b32_e32 v9, v7
	s_and_b64 s[0:1], s[2:3], s[0:1]
	s_and_saveexec_b64 s[2:3], s[0:1]
	s_cbranch_execz .LBB17_11
; %bb.10:
	v_cmp_eq_f64_e64 s[0:1], v[5:6], v[7:8]
	v_min_i32_e32 v9, v13, v2
	v_mov_b32_e32 v7, v3
	v_mov_b32_e32 v8, v4
	v_cndmask_b32_e64 v13, v2, v9, s[0:1]
	v_mov_b32_e32 v10, v6
	v_mov_b32_e32 v9, v5
.LBB17_11:
	s_or_b64 exec, exec, s[2:3]
	v_mov_b32_e32 v5, v9
	v_mov_b32_e32 v4, v8
	v_mov_b32_e32 v3, v7
	v_mov_b32_e32 v2, v13
	v_mov_b32_e32 v6, v10
.LBB17_12:
	s_or_b64 exec, exec, s[8:9]
	v_cmp_gt_u32_e64 s[0:1], 56, v16
	s_waitcnt lgkmcnt(1)
	v_cndmask_b32_e64 v7, 0, 8, s[0:1]
	v_add_lshl_u32 v13, v7, v12, 2
	ds_bpermute_b32 v14, v13, v2
	ds_bpermute_b32 v7, v13, v3
	s_waitcnt lgkmcnt(2)
	ds_bpermute_b32 v8, v13, v4
	s_waitcnt lgkmcnt(2)
	v_cmp_ne_u32_e64 s[0:1], 0, v14
	s_and_saveexec_b64 s[8:9], s[0:1]
	s_cbranch_execz .LBB17_16
; %bb.13:
	s_waitcnt lgkmcnt(0)
	v_cmp_ngt_f64_e64 s[0:1], v[5:6], v[7:8]
	v_cmp_ne_u32_e64 s[2:3], 0, v2
	v_mov_b32_e32 v10, v8
	v_mov_b32_e32 v9, v7
	s_and_b64 s[0:1], s[2:3], s[0:1]
	s_and_saveexec_b64 s[2:3], s[0:1]
	s_cbranch_execz .LBB17_15
; %bb.14:
	v_cmp_eq_f64_e64 s[0:1], v[5:6], v[7:8]
	v_min_i32_e32 v9, v14, v2
	v_mov_b32_e32 v7, v3
	v_mov_b32_e32 v8, v4
	v_cndmask_b32_e64 v14, v2, v9, s[0:1]
	v_mov_b32_e32 v10, v6
	v_mov_b32_e32 v9, v5
.LBB17_15:
	s_or_b64 exec, exec, s[2:3]
	v_mov_b32_e32 v5, v9
	v_mov_b32_e32 v4, v8
	v_mov_b32_e32 v3, v7
	v_mov_b32_e32 v2, v14
	v_mov_b32_e32 v6, v10
.LBB17_16:
	s_or_b64 exec, exec, s[8:9]
	v_cmp_gt_u32_e64 s[0:1], 60, v16
	s_waitcnt lgkmcnt(1)
	v_cndmask_b32_e64 v7, 0, 4, s[0:1]
	v_add_lshl_u32 v14, v7, v12, 2
	ds_bpermute_b32 v15, v14, v2
	ds_bpermute_b32 v7, v14, v3
	s_waitcnt lgkmcnt(2)
	ds_bpermute_b32 v8, v14, v4
	;; [unrolled: 38-line block ×3, first 2 shown]
	s_waitcnt lgkmcnt(2)
	v_cmp_ne_u32_e64 s[0:1], 0, v17
	s_and_saveexec_b64 s[8:9], s[0:1]
	s_cbranch_execz .LBB17_24
; %bb.21:
	s_waitcnt lgkmcnt(0)
	v_cmp_ngt_f64_e64 s[0:1], v[5:6], v[7:8]
	v_cmp_ne_u32_e64 s[2:3], 0, v2
	v_mov_b32_e32 v10, v8
	v_mov_b32_e32 v9, v7
	s_and_b64 s[0:1], s[2:3], s[0:1]
	s_and_saveexec_b64 s[2:3], s[0:1]
	s_cbranch_execz .LBB17_23
; %bb.22:
	v_cmp_eq_f64_e64 s[0:1], v[5:6], v[7:8]
	v_min_i32_e32 v9, v17, v2
	v_mov_b32_e32 v7, v3
	v_mov_b32_e32 v8, v4
	v_cndmask_b32_e64 v17, v2, v9, s[0:1]
	v_mov_b32_e32 v10, v6
	v_mov_b32_e32 v9, v5
.LBB17_23:
	s_or_b64 exec, exec, s[2:3]
	v_mov_b32_e32 v5, v9
	v_mov_b32_e32 v4, v8
	;; [unrolled: 1-line block ×5, first 2 shown]
.LBB17_24:
	s_or_b64 exec, exec, s[8:9]
	v_cmp_ne_u32_e64 s[0:1], 63, v16
	s_waitcnt lgkmcnt(1)
	v_addc_co_u32_e64 v7, s[0:1], 0, v12, s[0:1]
	v_lshlrev_b32_e32 v9, 2, v7
	ds_bpermute_b32 v7, v9, v2
	ds_bpermute_b32 v3, v9, v3
	;; [unrolled: 1-line block ×3, first 2 shown]
	s_waitcnt lgkmcnt(2)
	v_cmp_ne_u32_e64 s[0:1], 0, v7
	s_and_saveexec_b64 s[14:15], s[0:1]
	s_cbranch_execz .LBB17_26
; %bb.25:
	s_waitcnt lgkmcnt(0)
	v_cmp_gt_f64_e64 s[0:1], v[5:6], v[3:4]
	v_cmp_eq_f64_e64 s[8:9], v[5:6], v[3:4]
	v_cmp_eq_u32_e64 s[2:3], 0, v2
	v_min_i32_e32 v8, v7, v2
	s_or_b64 s[0:1], s[2:3], s[0:1]
	v_cndmask_b32_e64 v2, v2, v8, s[8:9]
	v_cndmask_b32_e64 v2, v2, v7, s[0:1]
	v_cndmask_b32_e64 v6, v6, v4, s[0:1]
	v_cndmask_b32_e64 v5, v5, v3, s[0:1]
.LBB17_26:
	s_or_b64 exec, exec, s[14:15]
	v_cmp_eq_u32_e64 s[0:1], 0, v1
	s_and_saveexec_b64 s[2:3], s[0:1]
	s_cbranch_execz .LBB17_28
; %bb.27:
	v_lshrrev_b32_e32 v1, 2, v0
	v_and_b32_e32 v1, 0xf0, v1
	ds_write_b32 v1, v2
	ds_write_b64 v1, v[5:6] offset:8
.LBB17_28:
	s_or_b64 exec, exec, s[2:3]
	v_mov_b32_e32 v1, 0
	v_cmp_gt_u32_e64 s[0:1], 16, v0
	v_mov_b32_e32 v2, 0
	v_mov_b32_e32 v10, 0
	s_waitcnt lgkmcnt(0)
	s_barrier
	s_and_saveexec_b64 s[2:3], s[0:1]
	s_cbranch_execz .LBB17_30
; %bb.29:
	ds_read_b32 v10, v11
	ds_read_b64 v[1:2], v11 offset:8
.LBB17_30:
	s_or_b64 exec, exec, s[2:3]
	s_and_saveexec_b64 s[8:9], vcc
	s_cbranch_execz .LBB17_46
; %bb.31:
	s_waitcnt lgkmcnt(1)
	ds_bpermute_b32 v7, v13, v10
	s_waitcnt lgkmcnt(1)
	ds_bpermute_b32 v5, v13, v1
	ds_bpermute_b32 v6, v13, v2
	v_mov_b32_e32 v4, v2
	v_mov_b32_e32 v3, v1
	s_waitcnt lgkmcnt(2)
	v_cmp_ne_u32_e32 vcc, 0, v7
	s_and_saveexec_b64 s[2:3], vcc
	s_cbranch_execz .LBB17_35
; %bb.32:
	s_waitcnt lgkmcnt(0)
	v_cmp_ngt_f64_e32 vcc, v[1:2], v[5:6]
	v_cmp_ne_u32_e64 s[0:1], 0, v10
	v_mov_b32_e32 v3, v5
	v_mov_b32_e32 v4, v6
	s_and_b64 s[14:15], s[0:1], vcc
	s_and_saveexec_b64 s[0:1], s[14:15]
	s_cbranch_execz .LBB17_34
; %bb.33:
	v_cmp_eq_f64_e32 vcc, v[1:2], v[5:6]
	v_min_i32_e32 v3, v7, v10
	v_mov_b32_e32 v5, v1
	v_mov_b32_e32 v6, v2
	v_cndmask_b32_e32 v7, v10, v3, vcc
	v_mov_b32_e32 v4, v2
	v_mov_b32_e32 v3, v1
.LBB17_34:
	s_or_b64 exec, exec, s[0:1]
	v_mov_b32_e32 v2, v6
	v_mov_b32_e32 v1, v5
	;; [unrolled: 1-line block ×3, first 2 shown]
.LBB17_35:
	s_or_b64 exec, exec, s[2:3]
	ds_bpermute_b32 v11, v14, v10
	s_waitcnt lgkmcnt(2)
	ds_bpermute_b32 v5, v14, v1
	s_waitcnt lgkmcnt(2)
	;; [unrolled: 2-line block ×3, first 2 shown]
	v_cmp_ne_u32_e32 vcc, 0, v11
	s_and_saveexec_b64 s[2:3], vcc
	s_cbranch_execz .LBB17_39
; %bb.36:
	s_waitcnt lgkmcnt(0)
	v_cmp_ngt_f64_e32 vcc, v[3:4], v[5:6]
	v_cmp_ne_u32_e64 s[0:1], 0, v10
	v_mov_b32_e32 v8, v6
	v_mov_b32_e32 v7, v5
	s_and_b64 s[14:15], s[0:1], vcc
	s_and_saveexec_b64 s[0:1], s[14:15]
	s_cbranch_execz .LBB17_38
; %bb.37:
	v_cmp_eq_f64_e32 vcc, v[3:4], v[5:6]
	v_min_i32_e32 v7, v11, v10
	v_mov_b32_e32 v5, v1
	v_mov_b32_e32 v6, v2
	v_cndmask_b32_e32 v11, v10, v7, vcc
	v_mov_b32_e32 v8, v4
	v_mov_b32_e32 v7, v3
.LBB17_38:
	s_or_b64 exec, exec, s[0:1]
	v_mov_b32_e32 v3, v7
	v_mov_b32_e32 v2, v6
	;; [unrolled: 1-line block ×5, first 2 shown]
.LBB17_39:
	s_or_b64 exec, exec, s[2:3]
	ds_bpermute_b32 v11, v15, v10
	s_waitcnt lgkmcnt(2)
	ds_bpermute_b32 v5, v15, v1
	s_waitcnt lgkmcnt(2)
	ds_bpermute_b32 v6, v15, v2
	s_waitcnt lgkmcnt(2)
	v_cmp_ne_u32_e32 vcc, 0, v11
	s_and_saveexec_b64 s[2:3], vcc
	s_cbranch_execz .LBB17_43
; %bb.40:
	s_waitcnt lgkmcnt(0)
	v_cmp_ngt_f64_e32 vcc, v[3:4], v[5:6]
	v_cmp_ne_u32_e64 s[0:1], 0, v10
	v_mov_b32_e32 v8, v6
	v_mov_b32_e32 v7, v5
	s_and_b64 s[14:15], s[0:1], vcc
	s_and_saveexec_b64 s[0:1], s[14:15]
	s_cbranch_execz .LBB17_42
; %bb.41:
	v_cmp_eq_f64_e32 vcc, v[3:4], v[5:6]
	v_min_i32_e32 v7, v11, v10
	v_mov_b32_e32 v5, v1
	v_mov_b32_e32 v6, v2
	v_cndmask_b32_e32 v11, v10, v7, vcc
	v_mov_b32_e32 v8, v4
	v_mov_b32_e32 v7, v3
.LBB17_42:
	s_or_b64 exec, exec, s[0:1]
	v_mov_b32_e32 v3, v7
	v_mov_b32_e32 v2, v6
	;; [unrolled: 1-line block ×5, first 2 shown]
.LBB17_43:
	s_or_b64 exec, exec, s[2:3]
	s_waitcnt lgkmcnt(1)
	ds_bpermute_b32 v5, v9, v10
	ds_bpermute_b32 v1, v9, v1
	ds_bpermute_b32 v2, v9, v2
	s_waitcnt lgkmcnt(2)
	v_cmp_ne_u32_e32 vcc, 0, v5
	s_and_saveexec_b64 s[14:15], vcc
	s_cbranch_execz .LBB17_45
; %bb.44:
	s_waitcnt lgkmcnt(0)
	v_cmp_gt_f64_e32 vcc, v[3:4], v[1:2]
	v_cmp_eq_f64_e64 s[2:3], v[3:4], v[1:2]
	v_cmp_eq_u32_e64 s[0:1], 0, v10
	v_min_i32_e32 v6, v5, v10
	s_or_b64 vcc, s[0:1], vcc
	v_cndmask_b32_e64 v6, v10, v6, s[2:3]
	v_cndmask_b32_e32 v10, v6, v5, vcc
	v_cndmask_b32_e32 v4, v4, v2, vcc
	;; [unrolled: 1-line block ×3, first 2 shown]
.LBB17_45:
	s_or_b64 exec, exec, s[14:15]
	s_waitcnt lgkmcnt(0)
	v_mov_b32_e32 v1, v3
	v_mov_b32_e32 v2, v4
.LBB17_46:
	s_or_b64 exec, exec, s[8:9]
	s_mov_b32 s1, 0
	v_cmp_eq_u32_e32 vcc, 0, v0
	s_and_saveexec_b64 s[2:3], vcc
	s_cbranch_execz .LBB17_48
; %bb.47:
	s_load_dwordx2 s[2:3], s[4:5], 0x30
	s_mul_i32 s0, s13, s10
	s_add_i32 s0, s0, s6
	s_lshl_b64 s[0:1], s[0:1], 4
	v_mov_b32_e32 v0, 0
	s_waitcnt lgkmcnt(0)
	s_add_u32 s0, s2, s0
	s_addc_u32 s1, s3, s1
	global_store_dword v0, v10, s[0:1]
	global_store_dwordx2 v0, v[1:2], s[0:1] offset:8
.LBB17_48:
	s_endpgm
	.section	.rodata,"a",@progbits
	.p2align	6, 0x0
	.amdhsa_kernel _ZL32rocblas_iamax_iamin_kernel_part1ILi1024E23rocblas_fetch_amax_aminIdE19rocblas_reduce_aminPKPKd21rocblas_index_value_tIdEEviiT2_liliPT3_
		.amdhsa_group_segment_fixed_size 1024
		.amdhsa_private_segment_fixed_size 0
		.amdhsa_kernarg_size 56
		.amdhsa_user_sgpr_count 6
		.amdhsa_user_sgpr_private_segment_buffer 1
		.amdhsa_user_sgpr_dispatch_ptr 0
		.amdhsa_user_sgpr_queue_ptr 0
		.amdhsa_user_sgpr_kernarg_segment_ptr 1
		.amdhsa_user_sgpr_dispatch_id 0
		.amdhsa_user_sgpr_flat_scratch_init 0
		.amdhsa_user_sgpr_private_segment_size 0
		.amdhsa_uses_dynamic_stack 0
		.amdhsa_system_sgpr_private_segment_wavefront_offset 0
		.amdhsa_system_sgpr_workgroup_id_x 1
		.amdhsa_system_sgpr_workgroup_id_y 0
		.amdhsa_system_sgpr_workgroup_id_z 1
		.amdhsa_system_sgpr_workgroup_info 0
		.amdhsa_system_vgpr_workitem_id 0
		.amdhsa_next_free_vgpr 18
		.amdhsa_next_free_sgpr 20
		.amdhsa_reserve_vcc 1
		.amdhsa_reserve_flat_scratch 0
		.amdhsa_float_round_mode_32 0
		.amdhsa_float_round_mode_16_64 0
		.amdhsa_float_denorm_mode_32 3
		.amdhsa_float_denorm_mode_16_64 3
		.amdhsa_dx10_clamp 1
		.amdhsa_ieee_mode 1
		.amdhsa_fp16_overflow 0
		.amdhsa_exception_fp_ieee_invalid_op 0
		.amdhsa_exception_fp_denorm_src 0
		.amdhsa_exception_fp_ieee_div_zero 0
		.amdhsa_exception_fp_ieee_overflow 0
		.amdhsa_exception_fp_ieee_underflow 0
		.amdhsa_exception_fp_ieee_inexact 0
		.amdhsa_exception_int_div_zero 0
	.end_amdhsa_kernel
	.section	.text._ZL32rocblas_iamax_iamin_kernel_part1ILi1024E23rocblas_fetch_amax_aminIdE19rocblas_reduce_aminPKPKd21rocblas_index_value_tIdEEviiT2_liliPT3_,"axG",@progbits,_ZL32rocblas_iamax_iamin_kernel_part1ILi1024E23rocblas_fetch_amax_aminIdE19rocblas_reduce_aminPKPKd21rocblas_index_value_tIdEEviiT2_liliPT3_,comdat
.Lfunc_end17:
	.size	_ZL32rocblas_iamax_iamin_kernel_part1ILi1024E23rocblas_fetch_amax_aminIdE19rocblas_reduce_aminPKPKd21rocblas_index_value_tIdEEviiT2_liliPT3_, .Lfunc_end17-_ZL32rocblas_iamax_iamin_kernel_part1ILi1024E23rocblas_fetch_amax_aminIdE19rocblas_reduce_aminPKPKd21rocblas_index_value_tIdEEviiT2_liliPT3_
                                        ; -- End function
	.set _ZL32rocblas_iamax_iamin_kernel_part1ILi1024E23rocblas_fetch_amax_aminIdE19rocblas_reduce_aminPKPKd21rocblas_index_value_tIdEEviiT2_liliPT3_.num_vgpr, 18
	.set _ZL32rocblas_iamax_iamin_kernel_part1ILi1024E23rocblas_fetch_amax_aminIdE19rocblas_reduce_aminPKPKd21rocblas_index_value_tIdEEviiT2_liliPT3_.num_agpr, 0
	.set _ZL32rocblas_iamax_iamin_kernel_part1ILi1024E23rocblas_fetch_amax_aminIdE19rocblas_reduce_aminPKPKd21rocblas_index_value_tIdEEviiT2_liliPT3_.numbered_sgpr, 20
	.set _ZL32rocblas_iamax_iamin_kernel_part1ILi1024E23rocblas_fetch_amax_aminIdE19rocblas_reduce_aminPKPKd21rocblas_index_value_tIdEEviiT2_liliPT3_.num_named_barrier, 0
	.set _ZL32rocblas_iamax_iamin_kernel_part1ILi1024E23rocblas_fetch_amax_aminIdE19rocblas_reduce_aminPKPKd21rocblas_index_value_tIdEEviiT2_liliPT3_.private_seg_size, 0
	.set _ZL32rocblas_iamax_iamin_kernel_part1ILi1024E23rocblas_fetch_amax_aminIdE19rocblas_reduce_aminPKPKd21rocblas_index_value_tIdEEviiT2_liliPT3_.uses_vcc, 1
	.set _ZL32rocblas_iamax_iamin_kernel_part1ILi1024E23rocblas_fetch_amax_aminIdE19rocblas_reduce_aminPKPKd21rocblas_index_value_tIdEEviiT2_liliPT3_.uses_flat_scratch, 0
	.set _ZL32rocblas_iamax_iamin_kernel_part1ILi1024E23rocblas_fetch_amax_aminIdE19rocblas_reduce_aminPKPKd21rocblas_index_value_tIdEEviiT2_liliPT3_.has_dyn_sized_stack, 0
	.set _ZL32rocblas_iamax_iamin_kernel_part1ILi1024E23rocblas_fetch_amax_aminIdE19rocblas_reduce_aminPKPKd21rocblas_index_value_tIdEEviiT2_liliPT3_.has_recursion, 0
	.set _ZL32rocblas_iamax_iamin_kernel_part1ILi1024E23rocblas_fetch_amax_aminIdE19rocblas_reduce_aminPKPKd21rocblas_index_value_tIdEEviiT2_liliPT3_.has_indirect_call, 0
	.section	.AMDGPU.csdata,"",@progbits
; Kernel info:
; codeLenInByte = 1992
; TotalNumSgprs: 24
; NumVgprs: 18
; ScratchSize: 0
; MemoryBound: 0
; FloatMode: 240
; IeeeMode: 1
; LDSByteSize: 1024 bytes/workgroup (compile time only)
; SGPRBlocks: 2
; VGPRBlocks: 4
; NumSGPRsForWavesPerEU: 24
; NumVGPRsForWavesPerEU: 18
; Occupancy: 10
; WaveLimiterHint : 1
; COMPUTE_PGM_RSRC2:SCRATCH_EN: 0
; COMPUTE_PGM_RSRC2:USER_SGPR: 6
; COMPUTE_PGM_RSRC2:TRAP_HANDLER: 0
; COMPUTE_PGM_RSRC2:TGID_X_EN: 1
; COMPUTE_PGM_RSRC2:TGID_Y_EN: 0
; COMPUTE_PGM_RSRC2:TGID_Z_EN: 1
; COMPUTE_PGM_RSRC2:TIDIG_COMP_CNT: 0
	.section	.text._ZL32rocblas_iamax_iamin_kernel_part1ILi1024E23rocblas_fetch_amax_aminIfE19rocblas_reduce_aminPKPK19rocblas_complex_numIfE21rocblas_index_value_tIfEEviiT2_liliPT3_,"axG",@progbits,_ZL32rocblas_iamax_iamin_kernel_part1ILi1024E23rocblas_fetch_amax_aminIfE19rocblas_reduce_aminPKPK19rocblas_complex_numIfE21rocblas_index_value_tIfEEviiT2_liliPT3_,comdat
	.globl	_ZL32rocblas_iamax_iamin_kernel_part1ILi1024E23rocblas_fetch_amax_aminIfE19rocblas_reduce_aminPKPK19rocblas_complex_numIfE21rocblas_index_value_tIfEEviiT2_liliPT3_ ; -- Begin function _ZL32rocblas_iamax_iamin_kernel_part1ILi1024E23rocblas_fetch_amax_aminIfE19rocblas_reduce_aminPKPK19rocblas_complex_numIfE21rocblas_index_value_tIfEEviiT2_liliPT3_
	.p2align	8
	.type	_ZL32rocblas_iamax_iamin_kernel_part1ILi1024E23rocblas_fetch_amax_aminIfE19rocblas_reduce_aminPKPK19rocblas_complex_numIfE21rocblas_index_value_tIfEEviiT2_liliPT3_,@function
_ZL32rocblas_iamax_iamin_kernel_part1ILi1024E23rocblas_fetch_amax_aminIfE19rocblas_reduce_aminPKPK19rocblas_complex_numIfE21rocblas_index_value_tIfEEviiT2_liliPT3_: ; @_ZL32rocblas_iamax_iamin_kernel_part1ILi1024E23rocblas_fetch_amax_aminIfE19rocblas_reduce_aminPKPK19rocblas_complex_numIfE21rocblas_index_value_tIfEEviiT2_liliPT3_
; %bb.0:
	s_load_dwordx2 s[12:13], s[4:5], 0x0
	v_lshl_or_b32 v1, s6, 10, v0
	v_mov_b32_e32 v2, 0
	s_mov_b32 s10, s7
                                        ; implicit-def: $vgpr3
	s_waitcnt lgkmcnt(0)
	s_ashr_i32 s1, s12, 31
	s_mov_b32 s0, s12
	v_cmp_gt_i64_e32 vcc, s[0:1], v[1:2]
	s_and_saveexec_b64 s[0:1], vcc
	s_cbranch_execz .LBB18_2
; %bb.1:
	s_load_dword s7, s[4:5], 0x18
	s_load_dwordx4 s[16:19], s[4:5], 0x8
	s_mov_b32 s11, 0
	s_lshl_b64 s[2:3], s[10:11], 3
	s_waitcnt lgkmcnt(0)
	s_ashr_i32 s11, s7, 31
	v_mad_u64_u32 v[2:3], s[8:9], s7, v1, 0
	s_add_u32 s2, s16, s2
	s_addc_u32 s3, s17, s3
	s_load_dwordx2 s[2:3], s[2:3], 0x0
	v_mad_u64_u32 v[3:4], s[8:9], s11, v1, v[3:4]
	s_lshl_b64 s[8:9], s[18:19], 3
	s_waitcnt lgkmcnt(0)
	s_add_u32 s2, s2, s8
	v_lshlrev_b64 v[2:3], 3, v[2:3]
	s_addc_u32 s3, s3, s9
	v_mov_b32_e32 v4, s3
	v_add_co_u32_e32 v2, vcc, s2, v2
	v_addc_co_u32_e32 v3, vcc, v4, v3, vcc
	flat_load_dwordx2 v[3:4], v[2:3]
	v_add_u32_e32 v2, 1, v1
	s_waitcnt vmcnt(0) lgkmcnt(0)
	v_cmp_gt_f32_e32 vcc, 0, v3
	v_cndmask_b32_e64 v1, v3, -v3, vcc
	v_cmp_gt_f32_e32 vcc, 0, v4
	v_cndmask_b32_e64 v3, v4, -v4, vcc
	v_add_f32_e32 v3, v1, v3
.LBB18_2:
	s_or_b64 exec, exec, s[0:1]
	v_and_b32_e32 v1, 63, v0
	v_cmp_gt_u32_e32 vcc, 64, v0
	v_lshlrev_b32_e32 v4, 3, v1
	s_and_saveexec_b64 s[0:1], vcc
; %bb.3:
	v_mov_b32_e32 v5, 0
	v_mov_b32_e32 v6, v5
	ds_write_b64 v4, v[5:6]
; %bb.4:
	s_or_b64 exec, exec, s[0:1]
	v_mbcnt_lo_u32_b32 v5, -1, 0
	v_mbcnt_hi_u32_b32 v5, -1, v5
	v_mov_b32_e32 v6, 0x80
	v_lshl_or_b32 v7, v5, 2, v6
	ds_bpermute_b32 v6, v7, v2
	ds_bpermute_b32 v7, v7, v3
	s_waitcnt lgkmcnt(0)
	s_barrier
	v_cmp_ne_u32_e64 s[0:1], 0, v6
	s_and_saveexec_b64 s[14:15], s[0:1]
; %bb.5:
	v_cmp_eq_u32_e64 s[0:1], 0, v2
	v_cmp_gt_f32_e64 s[2:3], v3, v7
	v_min_i32_e32 v8, v6, v2
	v_cmp_eq_f32_e64 s[8:9], v3, v7
	v_cndmask_b32_e64 v2, v2, v8, s[8:9]
	s_or_b64 s[0:1], s[0:1], s[2:3]
	v_cndmask_b32_e64 v2, v2, v6, s[0:1]
	v_cndmask_b32_e64 v3, v3, v7, s[0:1]
; %bb.6:
	s_or_b64 exec, exec, s[14:15]
	v_and_b32_e32 v9, 63, v5
	v_cmp_gt_u32_e64 s[0:1], 48, v9
	v_cndmask_b32_e64 v6, 0, 16, s[0:1]
	v_add_lshl_u32 v7, v6, v5, 2
	ds_bpermute_b32 v6, v7, v2
	ds_bpermute_b32 v7, v7, v3
	v_mov_b32_e32 v10, v3
	s_waitcnt lgkmcnt(1)
	v_cmp_ne_u32_e64 s[0:1], 0, v6
	s_and_saveexec_b64 s[8:9], s[0:1]
	s_cbranch_execz .LBB18_10
; %bb.7:
	v_cmp_ne_u32_e64 s[0:1], 0, v2
	s_waitcnt lgkmcnt(0)
	v_cmp_ngt_f32_e64 s[2:3], v3, v7
	s_and_b64 s[0:1], s[0:1], s[2:3]
	s_and_saveexec_b64 s[2:3], s[0:1]
; %bb.8:
	v_min_i32_e32 v6, v6, v2
	v_cmp_eq_f32_e64 s[0:1], v3, v7
	v_cndmask_b32_e64 v6, v2, v6, s[0:1]
	v_mov_b32_e32 v7, v3
; %bb.9:
	s_or_b64 exec, exec, s[2:3]
	v_mov_b32_e32 v3, v7
	v_mov_b32_e32 v2, v6
	;; [unrolled: 1-line block ×3, first 2 shown]
.LBB18_10:
	s_or_b64 exec, exec, s[8:9]
	v_cmp_gt_u32_e64 s[0:1], 56, v9
	v_cndmask_b32_e64 v6, 0, 8, s[0:1]
	v_add_lshl_u32 v6, v6, v5, 2
	s_waitcnt lgkmcnt(0)
	ds_bpermute_b32 v7, v6, v2
	ds_bpermute_b32 v8, v6, v3
	s_waitcnt lgkmcnt(1)
	v_cmp_ne_u32_e64 s[0:1], 0, v7
	s_and_saveexec_b64 s[8:9], s[0:1]
	s_cbranch_execz .LBB18_14
; %bb.11:
	v_cmp_ne_u32_e64 s[0:1], 0, v2
	s_waitcnt lgkmcnt(0)
	v_cmp_ngt_f32_e64 s[2:3], v10, v8
	s_and_b64 s[0:1], s[0:1], s[2:3]
	v_mov_b32_e32 v11, v8
	s_and_saveexec_b64 s[2:3], s[0:1]
; %bb.12:
	v_min_i32_e32 v7, v7, v2
	v_cmp_eq_f32_e64 s[0:1], v10, v8
	v_cndmask_b32_e64 v7, v2, v7, s[0:1]
	v_mov_b32_e32 v11, v10
	v_mov_b32_e32 v8, v3
; %bb.13:
	s_or_b64 exec, exec, s[2:3]
	v_mov_b32_e32 v3, v8
	v_mov_b32_e32 v2, v7
	v_mov_b32_e32 v10, v11
.LBB18_14:
	s_or_b64 exec, exec, s[8:9]
	v_cmp_gt_u32_e64 s[0:1], 60, v9
	v_cndmask_b32_e64 v7, 0, 4, s[0:1]
	v_add_lshl_u32 v7, v7, v5, 2
	s_waitcnt lgkmcnt(0)
	ds_bpermute_b32 v8, v7, v2
	ds_bpermute_b32 v11, v7, v3
	s_waitcnt lgkmcnt(1)
	v_cmp_ne_u32_e64 s[0:1], 0, v8
	s_and_saveexec_b64 s[8:9], s[0:1]
	s_cbranch_execz .LBB18_18
; %bb.15:
	v_cmp_ne_u32_e64 s[0:1], 0, v2
	s_waitcnt lgkmcnt(0)
	v_cmp_ngt_f32_e64 s[2:3], v10, v11
	s_and_b64 s[0:1], s[0:1], s[2:3]
	v_mov_b32_e32 v12, v11
	s_and_saveexec_b64 s[2:3], s[0:1]
; %bb.16:
	v_min_i32_e32 v8, v8, v2
	v_cmp_eq_f32_e64 s[0:1], v10, v11
	v_cndmask_b32_e64 v8, v2, v8, s[0:1]
	v_mov_b32_e32 v12, v10
	v_mov_b32_e32 v11, v3
; %bb.17:
	s_or_b64 exec, exec, s[2:3]
	v_mov_b32_e32 v3, v11
	v_mov_b32_e32 v2, v8
	v_mov_b32_e32 v10, v12
.LBB18_18:
	;; [unrolled: 30-line block ×3, first 2 shown]
	s_or_b64 exec, exec, s[8:9]
	v_cmp_ne_u32_e64 s[0:1], 63, v9
	v_addc_co_u32_e64 v5, s[0:1], 0, v5, s[0:1]
	v_lshlrev_b32_e32 v5, 2, v5
	ds_bpermute_b32 v9, v5, v2
	ds_bpermute_b32 v11, v5, v3
	s_waitcnt lgkmcnt(1)
	v_cmp_ne_u32_e64 s[0:1], 0, v9
	s_and_saveexec_b64 s[14:15], s[0:1]
	s_cbranch_execz .LBB18_24
; %bb.23:
	v_cmp_eq_u32_e64 s[0:1], 0, v2
	s_waitcnt lgkmcnt(0)
	v_cmp_gt_f32_e64 s[2:3], v10, v11
	v_min_i32_e32 v12, v9, v2
	v_cmp_eq_f32_e64 s[8:9], v10, v11
	v_cndmask_b32_e64 v2, v2, v12, s[8:9]
	s_or_b64 s[0:1], s[0:1], s[2:3]
	v_cndmask_b32_e64 v3, v3, v11, s[0:1]
	v_cndmask_b32_e64 v2, v2, v9, s[0:1]
.LBB18_24:
	s_or_b64 exec, exec, s[14:15]
	v_cmp_eq_u32_e64 s[0:1], 0, v1
	s_and_saveexec_b64 s[2:3], s[0:1]
; %bb.25:
	v_lshrrev_b32_e32 v1, 3, v0
	v_and_b32_e32 v1, 0x78, v1
	ds_write_b64 v1, v[2:3]
; %bb.26:
	s_or_b64 exec, exec, s[2:3]
	v_cmp_gt_u32_e64 s[0:1], 16, v0
	v_mov_b32_e32 v1, 0
	v_mov_b32_e32 v2, 0
	s_waitcnt lgkmcnt(0)
	s_barrier
	s_and_saveexec_b64 s[2:3], s[0:1]
; %bb.27:
	ds_read_b64 v[1:2], v4
; %bb.28:
	s_or_b64 exec, exec, s[2:3]
	s_and_saveexec_b64 s[8:9], vcc
	s_cbranch_execz .LBB18_42
; %bb.29:
	s_waitcnt lgkmcnt(0)
	ds_bpermute_b32 v3, v6, v1
	ds_bpermute_b32 v4, v6, v2
	s_waitcnt lgkmcnt(1)
	v_cmp_ne_u32_e32 vcc, 0, v3
	s_and_saveexec_b64 s[14:15], vcc
	s_cbranch_execz .LBB18_31
; %bb.30:
	v_cmp_eq_u32_e32 vcc, 0, v1
	s_waitcnt lgkmcnt(0)
	v_cmp_gt_f32_e64 s[0:1], v2, v4
	v_min_i32_e32 v6, v3, v1
	v_cmp_eq_f32_e64 s[2:3], v2, v4
	v_cndmask_b32_e64 v1, v1, v6, s[2:3]
	s_or_b64 vcc, vcc, s[0:1]
	v_cndmask_b32_e32 v1, v1, v3, vcc
	v_cndmask_b32_e32 v2, v2, v4, vcc
.LBB18_31:
	s_or_b64 exec, exec, s[14:15]
	s_waitcnt lgkmcnt(0)
	ds_bpermute_b32 v4, v7, v1
	ds_bpermute_b32 v6, v7, v2
	v_mov_b32_e32 v3, v2
	s_waitcnt lgkmcnt(1)
	v_cmp_ne_u32_e32 vcc, 0, v4
	s_and_saveexec_b64 s[2:3], vcc
	s_cbranch_execz .LBB18_35
; %bb.32:
	v_cmp_ne_u32_e32 vcc, 0, v1
	s_waitcnt lgkmcnt(0)
	v_cmp_ngt_f32_e64 s[0:1], v2, v6
	s_and_b64 s[14:15], vcc, s[0:1]
	s_and_saveexec_b64 s[0:1], s[14:15]
; %bb.33:
	v_min_i32_e32 v3, v4, v1
	v_cmp_eq_f32_e32 vcc, v2, v6
	v_cndmask_b32_e32 v4, v1, v3, vcc
	v_mov_b32_e32 v6, v2
; %bb.34:
	s_or_b64 exec, exec, s[0:1]
	v_mov_b32_e32 v2, v6
	v_mov_b32_e32 v1, v4
	;; [unrolled: 1-line block ×3, first 2 shown]
.LBB18_35:
	s_or_b64 exec, exec, s[2:3]
	ds_bpermute_b32 v4, v8, v1
	s_waitcnt lgkmcnt(1)
	ds_bpermute_b32 v6, v8, v2
	s_waitcnt lgkmcnt(1)
	v_cmp_ne_u32_e32 vcc, 0, v4
	s_and_saveexec_b64 s[2:3], vcc
	s_cbranch_execz .LBB18_39
; %bb.36:
	v_cmp_ne_u32_e32 vcc, 0, v1
	s_waitcnt lgkmcnt(0)
	v_cmp_ngt_f32_e64 s[0:1], v3, v6
	s_and_b64 s[14:15], vcc, s[0:1]
	v_mov_b32_e32 v7, v6
	s_and_saveexec_b64 s[0:1], s[14:15]
; %bb.37:
	v_min_i32_e32 v4, v4, v1
	v_cmp_eq_f32_e32 vcc, v3, v6
	v_cndmask_b32_e32 v4, v1, v4, vcc
	v_mov_b32_e32 v7, v3
	v_mov_b32_e32 v6, v2
; %bb.38:
	s_or_b64 exec, exec, s[0:1]
	v_mov_b32_e32 v2, v6
	v_mov_b32_e32 v1, v4
	;; [unrolled: 1-line block ×3, first 2 shown]
.LBB18_39:
	s_or_b64 exec, exec, s[2:3]
	ds_bpermute_b32 v4, v5, v1
	ds_bpermute_b32 v5, v5, v2
	s_waitcnt lgkmcnt(1)
	v_cmp_ne_u32_e32 vcc, 0, v4
	s_and_saveexec_b64 s[14:15], vcc
	s_cbranch_execz .LBB18_41
; %bb.40:
	v_cmp_eq_u32_e32 vcc, 0, v1
	s_waitcnt lgkmcnt(0)
	v_cmp_gt_f32_e64 s[0:1], v3, v5
	v_min_i32_e32 v6, v4, v1
	v_cmp_eq_f32_e64 s[2:3], v3, v5
	v_cndmask_b32_e64 v1, v1, v6, s[2:3]
	s_or_b64 vcc, vcc, s[0:1]
	v_cndmask_b32_e32 v2, v2, v5, vcc
	v_cndmask_b32_e32 v1, v1, v4, vcc
.LBB18_41:
	s_or_b64 exec, exec, s[14:15]
.LBB18_42:
	s_or_b64 exec, exec, s[8:9]
	s_mov_b32 s1, 0
	v_cmp_eq_u32_e32 vcc, 0, v0
	s_and_saveexec_b64 s[2:3], vcc
	s_cbranch_execz .LBB18_44
; %bb.43:
	s_load_dwordx2 s[2:3], s[4:5], 0x30
	s_mul_i32 s0, s13, s10
	s_add_i32 s0, s0, s6
	s_lshl_b64 s[0:1], s[0:1], 3
	v_mov_b32_e32 v0, 0
	s_waitcnt lgkmcnt(0)
	s_add_u32 s0, s2, s0
	s_addc_u32 s1, s3, s1
	global_store_dwordx2 v0, v[1:2], s[0:1]
.LBB18_44:
	s_endpgm
	.section	.rodata,"a",@progbits
	.p2align	6, 0x0
	.amdhsa_kernel _ZL32rocblas_iamax_iamin_kernel_part1ILi1024E23rocblas_fetch_amax_aminIfE19rocblas_reduce_aminPKPK19rocblas_complex_numIfE21rocblas_index_value_tIfEEviiT2_liliPT3_
		.amdhsa_group_segment_fixed_size 512
		.amdhsa_private_segment_fixed_size 0
		.amdhsa_kernarg_size 56
		.amdhsa_user_sgpr_count 6
		.amdhsa_user_sgpr_private_segment_buffer 1
		.amdhsa_user_sgpr_dispatch_ptr 0
		.amdhsa_user_sgpr_queue_ptr 0
		.amdhsa_user_sgpr_kernarg_segment_ptr 1
		.amdhsa_user_sgpr_dispatch_id 0
		.amdhsa_user_sgpr_flat_scratch_init 0
		.amdhsa_user_sgpr_private_segment_size 0
		.amdhsa_uses_dynamic_stack 0
		.amdhsa_system_sgpr_private_segment_wavefront_offset 0
		.amdhsa_system_sgpr_workgroup_id_x 1
		.amdhsa_system_sgpr_workgroup_id_y 0
		.amdhsa_system_sgpr_workgroup_id_z 1
		.amdhsa_system_sgpr_workgroup_info 0
		.amdhsa_system_vgpr_workitem_id 0
		.amdhsa_next_free_vgpr 14
		.amdhsa_next_free_sgpr 20
		.amdhsa_reserve_vcc 1
		.amdhsa_reserve_flat_scratch 0
		.amdhsa_float_round_mode_32 0
		.amdhsa_float_round_mode_16_64 0
		.amdhsa_float_denorm_mode_32 3
		.amdhsa_float_denorm_mode_16_64 3
		.amdhsa_dx10_clamp 1
		.amdhsa_ieee_mode 1
		.amdhsa_fp16_overflow 0
		.amdhsa_exception_fp_ieee_invalid_op 0
		.amdhsa_exception_fp_denorm_src 0
		.amdhsa_exception_fp_ieee_div_zero 0
		.amdhsa_exception_fp_ieee_overflow 0
		.amdhsa_exception_fp_ieee_underflow 0
		.amdhsa_exception_fp_ieee_inexact 0
		.amdhsa_exception_int_div_zero 0
	.end_amdhsa_kernel
	.section	.text._ZL32rocblas_iamax_iamin_kernel_part1ILi1024E23rocblas_fetch_amax_aminIfE19rocblas_reduce_aminPKPK19rocblas_complex_numIfE21rocblas_index_value_tIfEEviiT2_liliPT3_,"axG",@progbits,_ZL32rocblas_iamax_iamin_kernel_part1ILi1024E23rocblas_fetch_amax_aminIfE19rocblas_reduce_aminPKPK19rocblas_complex_numIfE21rocblas_index_value_tIfEEviiT2_liliPT3_,comdat
.Lfunc_end18:
	.size	_ZL32rocblas_iamax_iamin_kernel_part1ILi1024E23rocblas_fetch_amax_aminIfE19rocblas_reduce_aminPKPK19rocblas_complex_numIfE21rocblas_index_value_tIfEEviiT2_liliPT3_, .Lfunc_end18-_ZL32rocblas_iamax_iamin_kernel_part1ILi1024E23rocblas_fetch_amax_aminIfE19rocblas_reduce_aminPKPK19rocblas_complex_numIfE21rocblas_index_value_tIfEEviiT2_liliPT3_
                                        ; -- End function
	.set _ZL32rocblas_iamax_iamin_kernel_part1ILi1024E23rocblas_fetch_amax_aminIfE19rocblas_reduce_aminPKPK19rocblas_complex_numIfE21rocblas_index_value_tIfEEviiT2_liliPT3_.num_vgpr, 14
	.set _ZL32rocblas_iamax_iamin_kernel_part1ILi1024E23rocblas_fetch_amax_aminIfE19rocblas_reduce_aminPKPK19rocblas_complex_numIfE21rocblas_index_value_tIfEEviiT2_liliPT3_.num_agpr, 0
	.set _ZL32rocblas_iamax_iamin_kernel_part1ILi1024E23rocblas_fetch_amax_aminIfE19rocblas_reduce_aminPKPK19rocblas_complex_numIfE21rocblas_index_value_tIfEEviiT2_liliPT3_.numbered_sgpr, 20
	.set _ZL32rocblas_iamax_iamin_kernel_part1ILi1024E23rocblas_fetch_amax_aminIfE19rocblas_reduce_aminPKPK19rocblas_complex_numIfE21rocblas_index_value_tIfEEviiT2_liliPT3_.num_named_barrier, 0
	.set _ZL32rocblas_iamax_iamin_kernel_part1ILi1024E23rocblas_fetch_amax_aminIfE19rocblas_reduce_aminPKPK19rocblas_complex_numIfE21rocblas_index_value_tIfEEviiT2_liliPT3_.private_seg_size, 0
	.set _ZL32rocblas_iamax_iamin_kernel_part1ILi1024E23rocblas_fetch_amax_aminIfE19rocblas_reduce_aminPKPK19rocblas_complex_numIfE21rocblas_index_value_tIfEEviiT2_liliPT3_.uses_vcc, 1
	.set _ZL32rocblas_iamax_iamin_kernel_part1ILi1024E23rocblas_fetch_amax_aminIfE19rocblas_reduce_aminPKPK19rocblas_complex_numIfE21rocblas_index_value_tIfEEviiT2_liliPT3_.uses_flat_scratch, 0
	.set _ZL32rocblas_iamax_iamin_kernel_part1ILi1024E23rocblas_fetch_amax_aminIfE19rocblas_reduce_aminPKPK19rocblas_complex_numIfE21rocblas_index_value_tIfEEviiT2_liliPT3_.has_dyn_sized_stack, 0
	.set _ZL32rocblas_iamax_iamin_kernel_part1ILi1024E23rocblas_fetch_amax_aminIfE19rocblas_reduce_aminPKPK19rocblas_complex_numIfE21rocblas_index_value_tIfEEviiT2_liliPT3_.has_recursion, 0
	.set _ZL32rocblas_iamax_iamin_kernel_part1ILi1024E23rocblas_fetch_amax_aminIfE19rocblas_reduce_aminPKPK19rocblas_complex_numIfE21rocblas_index_value_tIfEEviiT2_liliPT3_.has_indirect_call, 0
	.section	.AMDGPU.csdata,"",@progbits
; Kernel info:
; codeLenInByte = 1580
; TotalNumSgprs: 24
; NumVgprs: 14
; ScratchSize: 0
; MemoryBound: 0
; FloatMode: 240
; IeeeMode: 1
; LDSByteSize: 512 bytes/workgroup (compile time only)
; SGPRBlocks: 2
; VGPRBlocks: 3
; NumSGPRsForWavesPerEU: 24
; NumVGPRsForWavesPerEU: 14
; Occupancy: 10
; WaveLimiterHint : 1
; COMPUTE_PGM_RSRC2:SCRATCH_EN: 0
; COMPUTE_PGM_RSRC2:USER_SGPR: 6
; COMPUTE_PGM_RSRC2:TRAP_HANDLER: 0
; COMPUTE_PGM_RSRC2:TGID_X_EN: 1
; COMPUTE_PGM_RSRC2:TGID_Y_EN: 0
; COMPUTE_PGM_RSRC2:TGID_Z_EN: 1
; COMPUTE_PGM_RSRC2:TIDIG_COMP_CNT: 0
	.section	.text._ZL32rocblas_iamax_iamin_kernel_part1ILi1024E23rocblas_fetch_amax_aminIdE19rocblas_reduce_aminPKPK19rocblas_complex_numIdE21rocblas_index_value_tIdEEviiT2_liliPT3_,"axG",@progbits,_ZL32rocblas_iamax_iamin_kernel_part1ILi1024E23rocblas_fetch_amax_aminIdE19rocblas_reduce_aminPKPK19rocblas_complex_numIdE21rocblas_index_value_tIdEEviiT2_liliPT3_,comdat
	.globl	_ZL32rocblas_iamax_iamin_kernel_part1ILi1024E23rocblas_fetch_amax_aminIdE19rocblas_reduce_aminPKPK19rocblas_complex_numIdE21rocblas_index_value_tIdEEviiT2_liliPT3_ ; -- Begin function _ZL32rocblas_iamax_iamin_kernel_part1ILi1024E23rocblas_fetch_amax_aminIdE19rocblas_reduce_aminPKPK19rocblas_complex_numIdE21rocblas_index_value_tIdEEviiT2_liliPT3_
	.p2align	8
	.type	_ZL32rocblas_iamax_iamin_kernel_part1ILi1024E23rocblas_fetch_amax_aminIdE19rocblas_reduce_aminPKPK19rocblas_complex_numIdE21rocblas_index_value_tIdEEviiT2_liliPT3_,@function
_ZL32rocblas_iamax_iamin_kernel_part1ILi1024E23rocblas_fetch_amax_aminIdE19rocblas_reduce_aminPKPK19rocblas_complex_numIdE21rocblas_index_value_tIdEEviiT2_liliPT3_: ; @_ZL32rocblas_iamax_iamin_kernel_part1ILi1024E23rocblas_fetch_amax_aminIdE19rocblas_reduce_aminPKPK19rocblas_complex_numIdE21rocblas_index_value_tIdEEviiT2_liliPT3_
; %bb.0:
	s_load_dwordx2 s[12:13], s[4:5], 0x0
	v_lshl_or_b32 v1, s6, 10, v0
	v_mov_b32_e32 v2, 0
	s_mov_b32 s10, s7
                                        ; implicit-def: $vgpr3_vgpr4
	s_waitcnt lgkmcnt(0)
	s_ashr_i32 s1, s12, 31
	s_mov_b32 s0, s12
	v_cmp_gt_i64_e32 vcc, s[0:1], v[1:2]
	s_and_saveexec_b64 s[0:1], vcc
	s_cbranch_execz .LBB19_2
; %bb.1:
	s_load_dword s7, s[4:5], 0x18
	s_load_dwordx4 s[16:19], s[4:5], 0x8
	s_mov_b32 s11, 0
	s_lshl_b64 s[2:3], s[10:11], 3
	s_waitcnt lgkmcnt(0)
	s_ashr_i32 s11, s7, 31
	v_mad_u64_u32 v[2:3], s[8:9], s7, v1, 0
	s_add_u32 s2, s16, s2
	s_addc_u32 s3, s17, s3
	s_load_dwordx2 s[2:3], s[2:3], 0x0
	v_mad_u64_u32 v[3:4], s[8:9], s11, v1, v[3:4]
	s_lshl_b64 s[8:9], s[18:19], 4
	s_waitcnt lgkmcnt(0)
	s_add_u32 s2, s2, s8
	v_lshlrev_b64 v[2:3], 4, v[2:3]
	s_addc_u32 s3, s3, s9
	v_mov_b32_e32 v4, s3
	v_add_co_u32_e32 v2, vcc, s2, v2
	v_addc_co_u32_e32 v3, vcc, v4, v3, vcc
	flat_load_dwordx4 v[2:5], v[2:3]
	s_waitcnt vmcnt(0) lgkmcnt(0)
	v_cmp_gt_f64_e32 vcc, 0, v[2:3]
	v_xor_b32_e32 v6, 0x80000000, v3
	v_xor_b32_e32 v7, 0x80000000, v5
	v_cndmask_b32_e32 v3, v3, v6, vcc
	v_cmp_gt_f64_e32 vcc, 0, v[4:5]
	v_cndmask_b32_e32 v5, v5, v7, vcc
	v_add_f64 v[3:4], v[2:3], v[4:5]
	v_add_u32_e32 v2, 1, v1
.LBB19_2:
	s_or_b64 exec, exec, s[0:1]
	v_and_b32_e32 v1, 63, v0
	v_cmp_gt_u32_e32 vcc, 64, v0
	v_lshlrev_b32_e32 v11, 4, v1
	s_and_saveexec_b64 s[0:1], vcc
	s_cbranch_execz .LBB19_4
; %bb.3:
	v_mov_b32_e32 v5, 0
	v_mov_b32_e32 v6, v5
	ds_write_b32 v11, v5
	ds_write_b64 v11, v[5:6] offset:8
.LBB19_4:
	s_or_b64 exec, exec, s[0:1]
	v_mbcnt_lo_u32_b32 v5, -1, 0
	v_mbcnt_hi_u32_b32 v12, -1, v5
	v_mov_b32_e32 v5, 0x80
	v_lshl_or_b32 v5, v12, 2, v5
	ds_bpermute_b32 v9, v5, v2
	ds_bpermute_b32 v7, v5, v3
	;; [unrolled: 1-line block ×3, first 2 shown]
	v_mov_b32_e32 v6, v4
	v_mov_b32_e32 v5, v3
	s_waitcnt lgkmcnt(2)
	v_cmp_ne_u32_e64 s[0:1], 0, v9
	s_waitcnt lgkmcnt(0)
	s_barrier
	s_and_saveexec_b64 s[8:9], s[0:1]
	s_cbranch_execz .LBB19_8
; %bb.5:
	v_cmp_ngt_f64_e64 s[0:1], v[3:4], v[7:8]
	v_cmp_ne_u32_e64 s[2:3], 0, v2
	v_mov_b32_e32 v5, v7
	v_mov_b32_e32 v6, v8
	s_and_b64 s[0:1], s[2:3], s[0:1]
	s_and_saveexec_b64 s[2:3], s[0:1]
	s_cbranch_execz .LBB19_7
; %bb.6:
	v_cmp_eq_f64_e64 s[0:1], v[3:4], v[7:8]
	v_min_i32_e32 v5, v9, v2
	v_mov_b32_e32 v7, v3
	v_mov_b32_e32 v8, v4
	v_cndmask_b32_e64 v9, v2, v5, s[0:1]
	v_mov_b32_e32 v6, v4
	v_mov_b32_e32 v5, v3
.LBB19_7:
	s_or_b64 exec, exec, s[2:3]
	v_mov_b32_e32 v4, v8
	v_mov_b32_e32 v3, v7
	;; [unrolled: 1-line block ×3, first 2 shown]
.LBB19_8:
	s_or_b64 exec, exec, s[8:9]
	v_and_b32_e32 v16, 63, v12
	v_cmp_gt_u32_e64 s[0:1], 48, v16
	v_cndmask_b32_e64 v7, 0, 16, s[0:1]
	v_add_lshl_u32 v8, v7, v12, 2
	ds_bpermute_b32 v13, v8, v2
	ds_bpermute_b32 v7, v8, v3
	;; [unrolled: 1-line block ×3, first 2 shown]
	s_waitcnt lgkmcnt(2)
	v_cmp_ne_u32_e64 s[0:1], 0, v13
	s_and_saveexec_b64 s[8:9], s[0:1]
	s_cbranch_execz .LBB19_12
; %bb.9:
	s_waitcnt lgkmcnt(0)
	v_cmp_ngt_f64_e64 s[0:1], v[5:6], v[7:8]
	v_cmp_ne_u32_e64 s[2:3], 0, v2
	v_mov_b32_e32 v10, v8
	v_mov_b32_e32 v9, v7
	s_and_b64 s[0:1], s[2:3], s[0:1]
	s_and_saveexec_b64 s[2:3], s[0:1]
	s_cbranch_execz .LBB19_11
; %bb.10:
	v_cmp_eq_f64_e64 s[0:1], v[5:6], v[7:8]
	v_min_i32_e32 v9, v13, v2
	v_mov_b32_e32 v7, v3
	v_mov_b32_e32 v8, v4
	v_cndmask_b32_e64 v13, v2, v9, s[0:1]
	v_mov_b32_e32 v10, v6
	v_mov_b32_e32 v9, v5
.LBB19_11:
	s_or_b64 exec, exec, s[2:3]
	v_mov_b32_e32 v5, v9
	v_mov_b32_e32 v4, v8
	v_mov_b32_e32 v3, v7
	v_mov_b32_e32 v2, v13
	v_mov_b32_e32 v6, v10
.LBB19_12:
	s_or_b64 exec, exec, s[8:9]
	v_cmp_gt_u32_e64 s[0:1], 56, v16
	s_waitcnt lgkmcnt(1)
	v_cndmask_b32_e64 v7, 0, 8, s[0:1]
	v_add_lshl_u32 v13, v7, v12, 2
	ds_bpermute_b32 v14, v13, v2
	ds_bpermute_b32 v7, v13, v3
	s_waitcnt lgkmcnt(2)
	ds_bpermute_b32 v8, v13, v4
	s_waitcnt lgkmcnt(2)
	v_cmp_ne_u32_e64 s[0:1], 0, v14
	s_and_saveexec_b64 s[8:9], s[0:1]
	s_cbranch_execz .LBB19_16
; %bb.13:
	s_waitcnt lgkmcnt(0)
	v_cmp_ngt_f64_e64 s[0:1], v[5:6], v[7:8]
	v_cmp_ne_u32_e64 s[2:3], 0, v2
	v_mov_b32_e32 v10, v8
	v_mov_b32_e32 v9, v7
	s_and_b64 s[0:1], s[2:3], s[0:1]
	s_and_saveexec_b64 s[2:3], s[0:1]
	s_cbranch_execz .LBB19_15
; %bb.14:
	v_cmp_eq_f64_e64 s[0:1], v[5:6], v[7:8]
	v_min_i32_e32 v9, v14, v2
	v_mov_b32_e32 v7, v3
	v_mov_b32_e32 v8, v4
	v_cndmask_b32_e64 v14, v2, v9, s[0:1]
	v_mov_b32_e32 v10, v6
	v_mov_b32_e32 v9, v5
.LBB19_15:
	s_or_b64 exec, exec, s[2:3]
	v_mov_b32_e32 v5, v9
	v_mov_b32_e32 v4, v8
	v_mov_b32_e32 v3, v7
	v_mov_b32_e32 v2, v14
	v_mov_b32_e32 v6, v10
.LBB19_16:
	s_or_b64 exec, exec, s[8:9]
	v_cmp_gt_u32_e64 s[0:1], 60, v16
	s_waitcnt lgkmcnt(1)
	v_cndmask_b32_e64 v7, 0, 4, s[0:1]
	v_add_lshl_u32 v14, v7, v12, 2
	ds_bpermute_b32 v15, v14, v2
	ds_bpermute_b32 v7, v14, v3
	s_waitcnt lgkmcnt(2)
	ds_bpermute_b32 v8, v14, v4
	;; [unrolled: 38-line block ×3, first 2 shown]
	s_waitcnt lgkmcnt(2)
	v_cmp_ne_u32_e64 s[0:1], 0, v17
	s_and_saveexec_b64 s[8:9], s[0:1]
	s_cbranch_execz .LBB19_24
; %bb.21:
	s_waitcnt lgkmcnt(0)
	v_cmp_ngt_f64_e64 s[0:1], v[5:6], v[7:8]
	v_cmp_ne_u32_e64 s[2:3], 0, v2
	v_mov_b32_e32 v10, v8
	v_mov_b32_e32 v9, v7
	s_and_b64 s[0:1], s[2:3], s[0:1]
	s_and_saveexec_b64 s[2:3], s[0:1]
	s_cbranch_execz .LBB19_23
; %bb.22:
	v_cmp_eq_f64_e64 s[0:1], v[5:6], v[7:8]
	v_min_i32_e32 v9, v17, v2
	v_mov_b32_e32 v7, v3
	v_mov_b32_e32 v8, v4
	v_cndmask_b32_e64 v17, v2, v9, s[0:1]
	v_mov_b32_e32 v10, v6
	v_mov_b32_e32 v9, v5
.LBB19_23:
	s_or_b64 exec, exec, s[2:3]
	v_mov_b32_e32 v5, v9
	v_mov_b32_e32 v4, v8
	;; [unrolled: 1-line block ×5, first 2 shown]
.LBB19_24:
	s_or_b64 exec, exec, s[8:9]
	v_cmp_ne_u32_e64 s[0:1], 63, v16
	s_waitcnt lgkmcnt(1)
	v_addc_co_u32_e64 v7, s[0:1], 0, v12, s[0:1]
	v_lshlrev_b32_e32 v9, 2, v7
	ds_bpermute_b32 v7, v9, v2
	ds_bpermute_b32 v3, v9, v3
	ds_bpermute_b32 v4, v9, v4
	s_waitcnt lgkmcnt(2)
	v_cmp_ne_u32_e64 s[0:1], 0, v7
	s_and_saveexec_b64 s[14:15], s[0:1]
	s_cbranch_execz .LBB19_26
; %bb.25:
	s_waitcnt lgkmcnt(0)
	v_cmp_gt_f64_e64 s[0:1], v[5:6], v[3:4]
	v_cmp_eq_f64_e64 s[8:9], v[5:6], v[3:4]
	v_cmp_eq_u32_e64 s[2:3], 0, v2
	v_min_i32_e32 v8, v7, v2
	s_or_b64 s[0:1], s[2:3], s[0:1]
	v_cndmask_b32_e64 v2, v2, v8, s[8:9]
	v_cndmask_b32_e64 v2, v2, v7, s[0:1]
	;; [unrolled: 1-line block ×4, first 2 shown]
.LBB19_26:
	s_or_b64 exec, exec, s[14:15]
	v_cmp_eq_u32_e64 s[0:1], 0, v1
	s_and_saveexec_b64 s[2:3], s[0:1]
	s_cbranch_execz .LBB19_28
; %bb.27:
	v_lshrrev_b32_e32 v1, 2, v0
	v_and_b32_e32 v1, 0xf0, v1
	ds_write_b32 v1, v2
	ds_write_b64 v1, v[5:6] offset:8
.LBB19_28:
	s_or_b64 exec, exec, s[2:3]
	v_mov_b32_e32 v1, 0
	v_cmp_gt_u32_e64 s[0:1], 16, v0
	v_mov_b32_e32 v2, 0
	v_mov_b32_e32 v10, 0
	s_waitcnt lgkmcnt(0)
	s_barrier
	s_and_saveexec_b64 s[2:3], s[0:1]
	s_cbranch_execz .LBB19_30
; %bb.29:
	ds_read_b32 v10, v11
	ds_read_b64 v[1:2], v11 offset:8
.LBB19_30:
	s_or_b64 exec, exec, s[2:3]
	s_and_saveexec_b64 s[8:9], vcc
	s_cbranch_execz .LBB19_46
; %bb.31:
	s_waitcnt lgkmcnt(1)
	ds_bpermute_b32 v7, v13, v10
	s_waitcnt lgkmcnt(1)
	ds_bpermute_b32 v5, v13, v1
	ds_bpermute_b32 v6, v13, v2
	v_mov_b32_e32 v4, v2
	v_mov_b32_e32 v3, v1
	s_waitcnt lgkmcnt(2)
	v_cmp_ne_u32_e32 vcc, 0, v7
	s_and_saveexec_b64 s[2:3], vcc
	s_cbranch_execz .LBB19_35
; %bb.32:
	s_waitcnt lgkmcnt(0)
	v_cmp_ngt_f64_e32 vcc, v[1:2], v[5:6]
	v_cmp_ne_u32_e64 s[0:1], 0, v10
	v_mov_b32_e32 v3, v5
	v_mov_b32_e32 v4, v6
	s_and_b64 s[14:15], s[0:1], vcc
	s_and_saveexec_b64 s[0:1], s[14:15]
	s_cbranch_execz .LBB19_34
; %bb.33:
	v_cmp_eq_f64_e32 vcc, v[1:2], v[5:6]
	v_min_i32_e32 v3, v7, v10
	v_mov_b32_e32 v5, v1
	v_mov_b32_e32 v6, v2
	v_cndmask_b32_e32 v7, v10, v3, vcc
	v_mov_b32_e32 v4, v2
	v_mov_b32_e32 v3, v1
.LBB19_34:
	s_or_b64 exec, exec, s[0:1]
	v_mov_b32_e32 v2, v6
	v_mov_b32_e32 v1, v5
	;; [unrolled: 1-line block ×3, first 2 shown]
.LBB19_35:
	s_or_b64 exec, exec, s[2:3]
	ds_bpermute_b32 v11, v14, v10
	s_waitcnt lgkmcnt(2)
	ds_bpermute_b32 v5, v14, v1
	s_waitcnt lgkmcnt(2)
	;; [unrolled: 2-line block ×3, first 2 shown]
	v_cmp_ne_u32_e32 vcc, 0, v11
	s_and_saveexec_b64 s[2:3], vcc
	s_cbranch_execz .LBB19_39
; %bb.36:
	s_waitcnt lgkmcnt(0)
	v_cmp_ngt_f64_e32 vcc, v[3:4], v[5:6]
	v_cmp_ne_u32_e64 s[0:1], 0, v10
	v_mov_b32_e32 v8, v6
	v_mov_b32_e32 v7, v5
	s_and_b64 s[14:15], s[0:1], vcc
	s_and_saveexec_b64 s[0:1], s[14:15]
	s_cbranch_execz .LBB19_38
; %bb.37:
	v_cmp_eq_f64_e32 vcc, v[3:4], v[5:6]
	v_min_i32_e32 v7, v11, v10
	v_mov_b32_e32 v5, v1
	v_mov_b32_e32 v6, v2
	v_cndmask_b32_e32 v11, v10, v7, vcc
	v_mov_b32_e32 v8, v4
	v_mov_b32_e32 v7, v3
.LBB19_38:
	s_or_b64 exec, exec, s[0:1]
	v_mov_b32_e32 v3, v7
	v_mov_b32_e32 v2, v6
	;; [unrolled: 1-line block ×5, first 2 shown]
.LBB19_39:
	s_or_b64 exec, exec, s[2:3]
	ds_bpermute_b32 v11, v15, v10
	s_waitcnt lgkmcnt(2)
	ds_bpermute_b32 v5, v15, v1
	s_waitcnt lgkmcnt(2)
	ds_bpermute_b32 v6, v15, v2
	s_waitcnt lgkmcnt(2)
	v_cmp_ne_u32_e32 vcc, 0, v11
	s_and_saveexec_b64 s[2:3], vcc
	s_cbranch_execz .LBB19_43
; %bb.40:
	s_waitcnt lgkmcnt(0)
	v_cmp_ngt_f64_e32 vcc, v[3:4], v[5:6]
	v_cmp_ne_u32_e64 s[0:1], 0, v10
	v_mov_b32_e32 v8, v6
	v_mov_b32_e32 v7, v5
	s_and_b64 s[14:15], s[0:1], vcc
	s_and_saveexec_b64 s[0:1], s[14:15]
	s_cbranch_execz .LBB19_42
; %bb.41:
	v_cmp_eq_f64_e32 vcc, v[3:4], v[5:6]
	v_min_i32_e32 v7, v11, v10
	v_mov_b32_e32 v5, v1
	v_mov_b32_e32 v6, v2
	v_cndmask_b32_e32 v11, v10, v7, vcc
	v_mov_b32_e32 v8, v4
	v_mov_b32_e32 v7, v3
.LBB19_42:
	s_or_b64 exec, exec, s[0:1]
	v_mov_b32_e32 v3, v7
	v_mov_b32_e32 v2, v6
	;; [unrolled: 1-line block ×5, first 2 shown]
.LBB19_43:
	s_or_b64 exec, exec, s[2:3]
	s_waitcnt lgkmcnt(1)
	ds_bpermute_b32 v5, v9, v10
	ds_bpermute_b32 v1, v9, v1
	ds_bpermute_b32 v2, v9, v2
	s_waitcnt lgkmcnt(2)
	v_cmp_ne_u32_e32 vcc, 0, v5
	s_and_saveexec_b64 s[14:15], vcc
	s_cbranch_execz .LBB19_45
; %bb.44:
	s_waitcnt lgkmcnt(0)
	v_cmp_gt_f64_e32 vcc, v[3:4], v[1:2]
	v_cmp_eq_f64_e64 s[2:3], v[3:4], v[1:2]
	v_cmp_eq_u32_e64 s[0:1], 0, v10
	v_min_i32_e32 v6, v5, v10
	s_or_b64 vcc, s[0:1], vcc
	v_cndmask_b32_e64 v6, v10, v6, s[2:3]
	v_cndmask_b32_e32 v10, v6, v5, vcc
	v_cndmask_b32_e32 v4, v4, v2, vcc
	;; [unrolled: 1-line block ×3, first 2 shown]
.LBB19_45:
	s_or_b64 exec, exec, s[14:15]
	s_waitcnt lgkmcnt(0)
	v_mov_b32_e32 v1, v3
	v_mov_b32_e32 v2, v4
.LBB19_46:
	s_or_b64 exec, exec, s[8:9]
	s_mov_b32 s1, 0
	v_cmp_eq_u32_e32 vcc, 0, v0
	s_and_saveexec_b64 s[2:3], vcc
	s_cbranch_execz .LBB19_48
; %bb.47:
	s_load_dwordx2 s[2:3], s[4:5], 0x30
	s_mul_i32 s0, s13, s10
	s_add_i32 s0, s0, s6
	s_lshl_b64 s[0:1], s[0:1], 4
	v_mov_b32_e32 v0, 0
	s_waitcnt lgkmcnt(0)
	s_add_u32 s0, s2, s0
	s_addc_u32 s1, s3, s1
	global_store_dword v0, v10, s[0:1]
	global_store_dwordx2 v0, v[1:2], s[0:1] offset:8
.LBB19_48:
	s_endpgm
	.section	.rodata,"a",@progbits
	.p2align	6, 0x0
	.amdhsa_kernel _ZL32rocblas_iamax_iamin_kernel_part1ILi1024E23rocblas_fetch_amax_aminIdE19rocblas_reduce_aminPKPK19rocblas_complex_numIdE21rocblas_index_value_tIdEEviiT2_liliPT3_
		.amdhsa_group_segment_fixed_size 1024
		.amdhsa_private_segment_fixed_size 0
		.amdhsa_kernarg_size 56
		.amdhsa_user_sgpr_count 6
		.amdhsa_user_sgpr_private_segment_buffer 1
		.amdhsa_user_sgpr_dispatch_ptr 0
		.amdhsa_user_sgpr_queue_ptr 0
		.amdhsa_user_sgpr_kernarg_segment_ptr 1
		.amdhsa_user_sgpr_dispatch_id 0
		.amdhsa_user_sgpr_flat_scratch_init 0
		.amdhsa_user_sgpr_private_segment_size 0
		.amdhsa_uses_dynamic_stack 0
		.amdhsa_system_sgpr_private_segment_wavefront_offset 0
		.amdhsa_system_sgpr_workgroup_id_x 1
		.amdhsa_system_sgpr_workgroup_id_y 0
		.amdhsa_system_sgpr_workgroup_id_z 1
		.amdhsa_system_sgpr_workgroup_info 0
		.amdhsa_system_vgpr_workitem_id 0
		.amdhsa_next_free_vgpr 18
		.amdhsa_next_free_sgpr 20
		.amdhsa_reserve_vcc 1
		.amdhsa_reserve_flat_scratch 0
		.amdhsa_float_round_mode_32 0
		.amdhsa_float_round_mode_16_64 0
		.amdhsa_float_denorm_mode_32 3
		.amdhsa_float_denorm_mode_16_64 3
		.amdhsa_dx10_clamp 1
		.amdhsa_ieee_mode 1
		.amdhsa_fp16_overflow 0
		.amdhsa_exception_fp_ieee_invalid_op 0
		.amdhsa_exception_fp_denorm_src 0
		.amdhsa_exception_fp_ieee_div_zero 0
		.amdhsa_exception_fp_ieee_overflow 0
		.amdhsa_exception_fp_ieee_underflow 0
		.amdhsa_exception_fp_ieee_inexact 0
		.amdhsa_exception_int_div_zero 0
	.end_amdhsa_kernel
	.section	.text._ZL32rocblas_iamax_iamin_kernel_part1ILi1024E23rocblas_fetch_amax_aminIdE19rocblas_reduce_aminPKPK19rocblas_complex_numIdE21rocblas_index_value_tIdEEviiT2_liliPT3_,"axG",@progbits,_ZL32rocblas_iamax_iamin_kernel_part1ILi1024E23rocblas_fetch_amax_aminIdE19rocblas_reduce_aminPKPK19rocblas_complex_numIdE21rocblas_index_value_tIdEEviiT2_liliPT3_,comdat
.Lfunc_end19:
	.size	_ZL32rocblas_iamax_iamin_kernel_part1ILi1024E23rocblas_fetch_amax_aminIdE19rocblas_reduce_aminPKPK19rocblas_complex_numIdE21rocblas_index_value_tIdEEviiT2_liliPT3_, .Lfunc_end19-_ZL32rocblas_iamax_iamin_kernel_part1ILi1024E23rocblas_fetch_amax_aminIdE19rocblas_reduce_aminPKPK19rocblas_complex_numIdE21rocblas_index_value_tIdEEviiT2_liliPT3_
                                        ; -- End function
	.set _ZL32rocblas_iamax_iamin_kernel_part1ILi1024E23rocblas_fetch_amax_aminIdE19rocblas_reduce_aminPKPK19rocblas_complex_numIdE21rocblas_index_value_tIdEEviiT2_liliPT3_.num_vgpr, 18
	.set _ZL32rocblas_iamax_iamin_kernel_part1ILi1024E23rocblas_fetch_amax_aminIdE19rocblas_reduce_aminPKPK19rocblas_complex_numIdE21rocblas_index_value_tIdEEviiT2_liliPT3_.num_agpr, 0
	.set _ZL32rocblas_iamax_iamin_kernel_part1ILi1024E23rocblas_fetch_amax_aminIdE19rocblas_reduce_aminPKPK19rocblas_complex_numIdE21rocblas_index_value_tIdEEviiT2_liliPT3_.numbered_sgpr, 20
	.set _ZL32rocblas_iamax_iamin_kernel_part1ILi1024E23rocblas_fetch_amax_aminIdE19rocblas_reduce_aminPKPK19rocblas_complex_numIdE21rocblas_index_value_tIdEEviiT2_liliPT3_.num_named_barrier, 0
	.set _ZL32rocblas_iamax_iamin_kernel_part1ILi1024E23rocblas_fetch_amax_aminIdE19rocblas_reduce_aminPKPK19rocblas_complex_numIdE21rocblas_index_value_tIdEEviiT2_liliPT3_.private_seg_size, 0
	.set _ZL32rocblas_iamax_iamin_kernel_part1ILi1024E23rocblas_fetch_amax_aminIdE19rocblas_reduce_aminPKPK19rocblas_complex_numIdE21rocblas_index_value_tIdEEviiT2_liliPT3_.uses_vcc, 1
	.set _ZL32rocblas_iamax_iamin_kernel_part1ILi1024E23rocblas_fetch_amax_aminIdE19rocblas_reduce_aminPKPK19rocblas_complex_numIdE21rocblas_index_value_tIdEEviiT2_liliPT3_.uses_flat_scratch, 0
	.set _ZL32rocblas_iamax_iamin_kernel_part1ILi1024E23rocblas_fetch_amax_aminIdE19rocblas_reduce_aminPKPK19rocblas_complex_numIdE21rocblas_index_value_tIdEEviiT2_liliPT3_.has_dyn_sized_stack, 0
	.set _ZL32rocblas_iamax_iamin_kernel_part1ILi1024E23rocblas_fetch_amax_aminIdE19rocblas_reduce_aminPKPK19rocblas_complex_numIdE21rocblas_index_value_tIdEEviiT2_liliPT3_.has_recursion, 0
	.set _ZL32rocblas_iamax_iamin_kernel_part1ILi1024E23rocblas_fetch_amax_aminIdE19rocblas_reduce_aminPKPK19rocblas_complex_numIdE21rocblas_index_value_tIdEEviiT2_liliPT3_.has_indirect_call, 0
	.section	.AMDGPU.csdata,"",@progbits
; Kernel info:
; codeLenInByte = 2016
; TotalNumSgprs: 24
; NumVgprs: 18
; ScratchSize: 0
; MemoryBound: 0
; FloatMode: 240
; IeeeMode: 1
; LDSByteSize: 1024 bytes/workgroup (compile time only)
; SGPRBlocks: 2
; VGPRBlocks: 4
; NumSGPRsForWavesPerEU: 24
; NumVGPRsForWavesPerEU: 18
; Occupancy: 10
; WaveLimiterHint : 1
; COMPUTE_PGM_RSRC2:SCRATCH_EN: 0
; COMPUTE_PGM_RSRC2:USER_SGPR: 6
; COMPUTE_PGM_RSRC2:TRAP_HANDLER: 0
; COMPUTE_PGM_RSRC2:TGID_X_EN: 1
; COMPUTE_PGM_RSRC2:TGID_Y_EN: 0
; COMPUTE_PGM_RSRC2:TGID_Z_EN: 1
; COMPUTE_PGM_RSRC2:TIDIG_COMP_CNT: 0
	.section	.AMDGPU.gpr_maximums,"",@progbits
	.set amdgpu.max_num_vgpr, 0
	.set amdgpu.max_num_agpr, 0
	.set amdgpu.max_num_sgpr, 0
	.section	.AMDGPU.csdata,"",@progbits
	.type	__hip_cuid_8c477db9fc8e7ba1,@object ; @__hip_cuid_8c477db9fc8e7ba1
	.section	.bss,"aw",@nobits
	.globl	__hip_cuid_8c477db9fc8e7ba1
__hip_cuid_8c477db9fc8e7ba1:
	.byte	0                               ; 0x0
	.size	__hip_cuid_8c477db9fc8e7ba1, 1

	.ident	"AMD clang version 22.0.0git (https://github.com/RadeonOpenCompute/llvm-project roc-7.2.4 26084 f58b06dce1f9c15707c5f808fd002e18c2accf7e)"
	.section	".note.GNU-stack","",@progbits
	.addrsig
	.addrsig_sym __hip_cuid_8c477db9fc8e7ba1
	.amdgpu_metadata
---
amdhsa.kernels:
  - .args:
      - .offset:         0
        .size:           4
        .value_kind:     by_value
      - .offset:         4
        .size:           4
        .value_kind:     by_value
      - .address_space:  global
        .offset:         8
        .size:           8
        .value_kind:     global_buffer
      - .offset:         16
        .size:           8
        .value_kind:     by_value
      - .offset:         24
        .size:           4
        .value_kind:     by_value
      - .offset:         32
        .size:           8
        .value_kind:     by_value
      - .offset:         40
        .size:           4
        .value_kind:     by_value
      - .address_space:  global
        .offset:         48
        .size:           8
        .value_kind:     global_buffer
    .group_segment_fixed_size: 512
    .kernarg_segment_align: 8
    .kernarg_segment_size: 56
    .language:       OpenCL C
    .language_version:
      - 2
      - 0
    .max_flat_workgroup_size: 1024
    .name:           _ZL32rocblas_iamax_iamin_kernel_part1ILi1024E23rocblas_fetch_amax_aminIfE19rocblas_reduce_amaxPKf21rocblas_index_value_tIfEEviiT2_liliPT3_
    .private_segment_fixed_size: 0
    .sgpr_count:     20
    .sgpr_spill_count: 0
    .symbol:         _ZL32rocblas_iamax_iamin_kernel_part1ILi1024E23rocblas_fetch_amax_aminIfE19rocblas_reduce_amaxPKf21rocblas_index_value_tIfEEviiT2_liliPT3_.kd
    .uniform_work_group_size: 1
    .uses_dynamic_stack: false
    .vgpr_count:     14
    .vgpr_spill_count: 0
    .wavefront_size: 64
  - .args:
      - .offset:         0
        .size:           4
        .value_kind:     by_value
      - .address_space:  global
        .offset:         8
        .size:           8
        .value_kind:     global_buffer
      - .address_space:  global
        .offset:         16
        .size:           8
        .value_kind:     global_buffer
    .group_segment_fixed_size: 512
    .kernarg_segment_align: 8
    .kernarg_segment_size: 24
    .language:       OpenCL C
    .language_version:
      - 2
      - 0
    .max_flat_workgroup_size: 1024
    .name:           _ZL32rocblas_iamax_iamin_kernel_part2ILi1024E19rocblas_reduce_amax21rocblas_index_value_tIfEiEviPT1_PT2_
    .private_segment_fixed_size: 0
    .sgpr_count:     20
    .sgpr_spill_count: 0
    .symbol:         _ZL32rocblas_iamax_iamin_kernel_part2ILi1024E19rocblas_reduce_amax21rocblas_index_value_tIfEiEviPT1_PT2_.kd
    .uniform_work_group_size: 1
    .uses_dynamic_stack: false
    .vgpr_count:     14
    .vgpr_spill_count: 0
    .wavefront_size: 64
  - .args:
      - .offset:         0
        .size:           4
        .value_kind:     by_value
      - .offset:         4
        .size:           4
        .value_kind:     by_value
      - .address_space:  global
        .offset:         8
        .size:           8
        .value_kind:     global_buffer
      - .offset:         16
        .size:           8
        .value_kind:     by_value
      - .offset:         24
        .size:           4
        .value_kind:     by_value
      - .offset:         32
        .size:           8
        .value_kind:     by_value
      - .offset:         40
        .size:           4
        .value_kind:     by_value
      - .address_space:  global
        .offset:         48
        .size:           8
        .value_kind:     global_buffer
    .group_segment_fixed_size: 1024
    .kernarg_segment_align: 8
    .kernarg_segment_size: 56
    .language:       OpenCL C
    .language_version:
      - 2
      - 0
    .max_flat_workgroup_size: 1024
    .name:           _ZL32rocblas_iamax_iamin_kernel_part1ILi1024E23rocblas_fetch_amax_aminIdE19rocblas_reduce_amaxPKd21rocblas_index_value_tIdEEviiT2_liliPT3_
    .private_segment_fixed_size: 0
    .sgpr_count:     20
    .sgpr_spill_count: 0
    .symbol:         _ZL32rocblas_iamax_iamin_kernel_part1ILi1024E23rocblas_fetch_amax_aminIdE19rocblas_reduce_amaxPKd21rocblas_index_value_tIdEEviiT2_liliPT3_.kd
    .uniform_work_group_size: 1
    .uses_dynamic_stack: false
    .vgpr_count:     18
    .vgpr_spill_count: 0
    .wavefront_size: 64
  - .args:
      - .offset:         0
        .size:           4
        .value_kind:     by_value
      - .address_space:  global
        .offset:         8
        .size:           8
        .value_kind:     global_buffer
      - .address_space:  global
        .offset:         16
        .size:           8
        .value_kind:     global_buffer
    .group_segment_fixed_size: 1024
    .kernarg_segment_align: 8
    .kernarg_segment_size: 24
    .language:       OpenCL C
    .language_version:
      - 2
      - 0
    .max_flat_workgroup_size: 1024
    .name:           _ZL32rocblas_iamax_iamin_kernel_part2ILi1024E19rocblas_reduce_amax21rocblas_index_value_tIdEiEviPT1_PT2_
    .private_segment_fixed_size: 0
    .sgpr_count:     20
    .sgpr_spill_count: 0
    .symbol:         _ZL32rocblas_iamax_iamin_kernel_part2ILi1024E19rocblas_reduce_amax21rocblas_index_value_tIdEiEviPT1_PT2_.kd
    .uniform_work_group_size: 1
    .uses_dynamic_stack: false
    .vgpr_count:     18
    .vgpr_spill_count: 0
    .wavefront_size: 64
  - .args:
      - .offset:         0
        .size:           4
        .value_kind:     by_value
      - .offset:         4
        .size:           4
        .value_kind:     by_value
      - .address_space:  global
        .offset:         8
        .size:           8
        .value_kind:     global_buffer
      - .offset:         16
        .size:           8
        .value_kind:     by_value
      - .offset:         24
        .size:           4
        .value_kind:     by_value
      - .offset:         32
        .size:           8
        .value_kind:     by_value
      - .offset:         40
        .size:           4
        .value_kind:     by_value
      - .address_space:  global
        .offset:         48
        .size:           8
        .value_kind:     global_buffer
    .group_segment_fixed_size: 512
    .kernarg_segment_align: 8
    .kernarg_segment_size: 56
    .language:       OpenCL C
    .language_version:
      - 2
      - 0
    .max_flat_workgroup_size: 1024
    .name:           _ZL32rocblas_iamax_iamin_kernel_part1ILi1024E23rocblas_fetch_amax_aminIfE19rocblas_reduce_amaxPK19rocblas_complex_numIfE21rocblas_index_value_tIfEEviiT2_liliPT3_
    .private_segment_fixed_size: 0
    .sgpr_count:     20
    .sgpr_spill_count: 0
    .symbol:         _ZL32rocblas_iamax_iamin_kernel_part1ILi1024E23rocblas_fetch_amax_aminIfE19rocblas_reduce_amaxPK19rocblas_complex_numIfE21rocblas_index_value_tIfEEviiT2_liliPT3_.kd
    .uniform_work_group_size: 1
    .uses_dynamic_stack: false
    .vgpr_count:     14
    .vgpr_spill_count: 0
    .wavefront_size: 64
  - .args:
      - .offset:         0
        .size:           4
        .value_kind:     by_value
      - .offset:         4
        .size:           4
        .value_kind:     by_value
      - .address_space:  global
        .offset:         8
        .size:           8
        .value_kind:     global_buffer
      - .offset:         16
        .size:           8
        .value_kind:     by_value
      - .offset:         24
        .size:           4
        .value_kind:     by_value
      - .offset:         32
        .size:           8
        .value_kind:     by_value
      - .offset:         40
        .size:           4
        .value_kind:     by_value
      - .address_space:  global
        .offset:         48
        .size:           8
        .value_kind:     global_buffer
    .group_segment_fixed_size: 1024
    .kernarg_segment_align: 8
    .kernarg_segment_size: 56
    .language:       OpenCL C
    .language_version:
      - 2
      - 0
    .max_flat_workgroup_size: 1024
    .name:           _ZL32rocblas_iamax_iamin_kernel_part1ILi1024E23rocblas_fetch_amax_aminIdE19rocblas_reduce_amaxPK19rocblas_complex_numIdE21rocblas_index_value_tIdEEviiT2_liliPT3_
    .private_segment_fixed_size: 0
    .sgpr_count:     20
    .sgpr_spill_count: 0
    .symbol:         _ZL32rocblas_iamax_iamin_kernel_part1ILi1024E23rocblas_fetch_amax_aminIdE19rocblas_reduce_amaxPK19rocblas_complex_numIdE21rocblas_index_value_tIdEEviiT2_liliPT3_.kd
    .uniform_work_group_size: 1
    .uses_dynamic_stack: false
    .vgpr_count:     18
    .vgpr_spill_count: 0
    .wavefront_size: 64
  - .args:
      - .offset:         0
        .size:           4
        .value_kind:     by_value
      - .offset:         4
        .size:           4
        .value_kind:     by_value
      - .address_space:  global
        .offset:         8
        .size:           8
        .value_kind:     global_buffer
      - .offset:         16
        .size:           8
        .value_kind:     by_value
      - .offset:         24
        .size:           4
        .value_kind:     by_value
      - .offset:         32
        .size:           8
        .value_kind:     by_value
      - .offset:         40
        .size:           4
        .value_kind:     by_value
      - .address_space:  global
        .offset:         48
        .size:           8
        .value_kind:     global_buffer
    .group_segment_fixed_size: 512
    .kernarg_segment_align: 8
    .kernarg_segment_size: 56
    .language:       OpenCL C
    .language_version:
      - 2
      - 0
    .max_flat_workgroup_size: 1024
    .name:           _ZL32rocblas_iamax_iamin_kernel_part1ILi1024E23rocblas_fetch_amax_aminIfE19rocblas_reduce_amaxPKPKf21rocblas_index_value_tIfEEviiT2_liliPT3_
    .private_segment_fixed_size: 0
    .sgpr_count:     24
    .sgpr_spill_count: 0
    .symbol:         _ZL32rocblas_iamax_iamin_kernel_part1ILi1024E23rocblas_fetch_amax_aminIfE19rocblas_reduce_amaxPKPKf21rocblas_index_value_tIfEEviiT2_liliPT3_.kd
    .uniform_work_group_size: 1
    .uses_dynamic_stack: false
    .vgpr_count:     14
    .vgpr_spill_count: 0
    .wavefront_size: 64
  - .args:
      - .offset:         0
        .size:           4
        .value_kind:     by_value
      - .offset:         4
        .size:           4
        .value_kind:     by_value
      - .address_space:  global
        .offset:         8
        .size:           8
        .value_kind:     global_buffer
      - .offset:         16
        .size:           8
        .value_kind:     by_value
      - .offset:         24
        .size:           4
        .value_kind:     by_value
      - .offset:         32
        .size:           8
        .value_kind:     by_value
      - .offset:         40
        .size:           4
        .value_kind:     by_value
      - .address_space:  global
        .offset:         48
        .size:           8
        .value_kind:     global_buffer
    .group_segment_fixed_size: 1024
    .kernarg_segment_align: 8
    .kernarg_segment_size: 56
    .language:       OpenCL C
    .language_version:
      - 2
      - 0
    .max_flat_workgroup_size: 1024
    .name:           _ZL32rocblas_iamax_iamin_kernel_part1ILi1024E23rocblas_fetch_amax_aminIdE19rocblas_reduce_amaxPKPKd21rocblas_index_value_tIdEEviiT2_liliPT3_
    .private_segment_fixed_size: 0
    .sgpr_count:     24
    .sgpr_spill_count: 0
    .symbol:         _ZL32rocblas_iamax_iamin_kernel_part1ILi1024E23rocblas_fetch_amax_aminIdE19rocblas_reduce_amaxPKPKd21rocblas_index_value_tIdEEviiT2_liliPT3_.kd
    .uniform_work_group_size: 1
    .uses_dynamic_stack: false
    .vgpr_count:     18
    .vgpr_spill_count: 0
    .wavefront_size: 64
  - .args:
      - .offset:         0
        .size:           4
        .value_kind:     by_value
      - .offset:         4
        .size:           4
        .value_kind:     by_value
      - .address_space:  global
        .offset:         8
        .size:           8
        .value_kind:     global_buffer
      - .offset:         16
        .size:           8
        .value_kind:     by_value
      - .offset:         24
        .size:           4
        .value_kind:     by_value
      - .offset:         32
        .size:           8
        .value_kind:     by_value
      - .offset:         40
        .size:           4
        .value_kind:     by_value
      - .address_space:  global
        .offset:         48
        .size:           8
        .value_kind:     global_buffer
    .group_segment_fixed_size: 512
    .kernarg_segment_align: 8
    .kernarg_segment_size: 56
    .language:       OpenCL C
    .language_version:
      - 2
      - 0
    .max_flat_workgroup_size: 1024
    .name:           _ZL32rocblas_iamax_iamin_kernel_part1ILi1024E23rocblas_fetch_amax_aminIfE19rocblas_reduce_amaxPKPK19rocblas_complex_numIfE21rocblas_index_value_tIfEEviiT2_liliPT3_
    .private_segment_fixed_size: 0
    .sgpr_count:     24
    .sgpr_spill_count: 0
    .symbol:         _ZL32rocblas_iamax_iamin_kernel_part1ILi1024E23rocblas_fetch_amax_aminIfE19rocblas_reduce_amaxPKPK19rocblas_complex_numIfE21rocblas_index_value_tIfEEviiT2_liliPT3_.kd
    .uniform_work_group_size: 1
    .uses_dynamic_stack: false
    .vgpr_count:     14
    .vgpr_spill_count: 0
    .wavefront_size: 64
  - .args:
      - .offset:         0
        .size:           4
        .value_kind:     by_value
      - .offset:         4
        .size:           4
        .value_kind:     by_value
      - .address_space:  global
        .offset:         8
        .size:           8
        .value_kind:     global_buffer
      - .offset:         16
        .size:           8
        .value_kind:     by_value
      - .offset:         24
        .size:           4
        .value_kind:     by_value
      - .offset:         32
        .size:           8
        .value_kind:     by_value
      - .offset:         40
        .size:           4
        .value_kind:     by_value
      - .address_space:  global
        .offset:         48
        .size:           8
        .value_kind:     global_buffer
    .group_segment_fixed_size: 1024
    .kernarg_segment_align: 8
    .kernarg_segment_size: 56
    .language:       OpenCL C
    .language_version:
      - 2
      - 0
    .max_flat_workgroup_size: 1024
    .name:           _ZL32rocblas_iamax_iamin_kernel_part1ILi1024E23rocblas_fetch_amax_aminIdE19rocblas_reduce_amaxPKPK19rocblas_complex_numIdE21rocblas_index_value_tIdEEviiT2_liliPT3_
    .private_segment_fixed_size: 0
    .sgpr_count:     24
    .sgpr_spill_count: 0
    .symbol:         _ZL32rocblas_iamax_iamin_kernel_part1ILi1024E23rocblas_fetch_amax_aminIdE19rocblas_reduce_amaxPKPK19rocblas_complex_numIdE21rocblas_index_value_tIdEEviiT2_liliPT3_.kd
    .uniform_work_group_size: 1
    .uses_dynamic_stack: false
    .vgpr_count:     18
    .vgpr_spill_count: 0
    .wavefront_size: 64
  - .args:
      - .offset:         0
        .size:           4
        .value_kind:     by_value
      - .offset:         4
        .size:           4
        .value_kind:     by_value
      - .address_space:  global
        .offset:         8
        .size:           8
        .value_kind:     global_buffer
      - .offset:         16
        .size:           8
        .value_kind:     by_value
      - .offset:         24
        .size:           4
        .value_kind:     by_value
      - .offset:         32
        .size:           8
        .value_kind:     by_value
      - .offset:         40
        .size:           4
        .value_kind:     by_value
      - .address_space:  global
        .offset:         48
        .size:           8
        .value_kind:     global_buffer
    .group_segment_fixed_size: 512
    .kernarg_segment_align: 8
    .kernarg_segment_size: 56
    .language:       OpenCL C
    .language_version:
      - 2
      - 0
    .max_flat_workgroup_size: 1024
    .name:           _ZL32rocblas_iamax_iamin_kernel_part1ILi1024E23rocblas_fetch_amax_aminIfE19rocblas_reduce_aminPKf21rocblas_index_value_tIfEEviiT2_liliPT3_
    .private_segment_fixed_size: 0
    .sgpr_count:     20
    .sgpr_spill_count: 0
    .symbol:         _ZL32rocblas_iamax_iamin_kernel_part1ILi1024E23rocblas_fetch_amax_aminIfE19rocblas_reduce_aminPKf21rocblas_index_value_tIfEEviiT2_liliPT3_.kd
    .uniform_work_group_size: 1
    .uses_dynamic_stack: false
    .vgpr_count:     14
    .vgpr_spill_count: 0
    .wavefront_size: 64
  - .args:
      - .offset:         0
        .size:           4
        .value_kind:     by_value
      - .address_space:  global
        .offset:         8
        .size:           8
        .value_kind:     global_buffer
      - .address_space:  global
        .offset:         16
        .size:           8
        .value_kind:     global_buffer
    .group_segment_fixed_size: 512
    .kernarg_segment_align: 8
    .kernarg_segment_size: 24
    .language:       OpenCL C
    .language_version:
      - 2
      - 0
    .max_flat_workgroup_size: 1024
    .name:           _ZL32rocblas_iamax_iamin_kernel_part2ILi1024E19rocblas_reduce_amin21rocblas_index_value_tIfEiEviPT1_PT2_
    .private_segment_fixed_size: 0
    .sgpr_count:     20
    .sgpr_spill_count: 0
    .symbol:         _ZL32rocblas_iamax_iamin_kernel_part2ILi1024E19rocblas_reduce_amin21rocblas_index_value_tIfEiEviPT1_PT2_.kd
    .uniform_work_group_size: 1
    .uses_dynamic_stack: false
    .vgpr_count:     14
    .vgpr_spill_count: 0
    .wavefront_size: 64
  - .args:
      - .offset:         0
        .size:           4
        .value_kind:     by_value
      - .offset:         4
        .size:           4
        .value_kind:     by_value
      - .address_space:  global
        .offset:         8
        .size:           8
        .value_kind:     global_buffer
      - .offset:         16
        .size:           8
        .value_kind:     by_value
      - .offset:         24
        .size:           4
        .value_kind:     by_value
      - .offset:         32
        .size:           8
        .value_kind:     by_value
      - .offset:         40
        .size:           4
        .value_kind:     by_value
      - .address_space:  global
        .offset:         48
        .size:           8
        .value_kind:     global_buffer
    .group_segment_fixed_size: 1024
    .kernarg_segment_align: 8
    .kernarg_segment_size: 56
    .language:       OpenCL C
    .language_version:
      - 2
      - 0
    .max_flat_workgroup_size: 1024
    .name:           _ZL32rocblas_iamax_iamin_kernel_part1ILi1024E23rocblas_fetch_amax_aminIdE19rocblas_reduce_aminPKd21rocblas_index_value_tIdEEviiT2_liliPT3_
    .private_segment_fixed_size: 0
    .sgpr_count:     20
    .sgpr_spill_count: 0
    .symbol:         _ZL32rocblas_iamax_iamin_kernel_part1ILi1024E23rocblas_fetch_amax_aminIdE19rocblas_reduce_aminPKd21rocblas_index_value_tIdEEviiT2_liliPT3_.kd
    .uniform_work_group_size: 1
    .uses_dynamic_stack: false
    .vgpr_count:     18
    .vgpr_spill_count: 0
    .wavefront_size: 64
  - .args:
      - .offset:         0
        .size:           4
        .value_kind:     by_value
      - .address_space:  global
        .offset:         8
        .size:           8
        .value_kind:     global_buffer
      - .address_space:  global
        .offset:         16
        .size:           8
        .value_kind:     global_buffer
    .group_segment_fixed_size: 1024
    .kernarg_segment_align: 8
    .kernarg_segment_size: 24
    .language:       OpenCL C
    .language_version:
      - 2
      - 0
    .max_flat_workgroup_size: 1024
    .name:           _ZL32rocblas_iamax_iamin_kernel_part2ILi1024E19rocblas_reduce_amin21rocblas_index_value_tIdEiEviPT1_PT2_
    .private_segment_fixed_size: 0
    .sgpr_count:     20
    .sgpr_spill_count: 0
    .symbol:         _ZL32rocblas_iamax_iamin_kernel_part2ILi1024E19rocblas_reduce_amin21rocblas_index_value_tIdEiEviPT1_PT2_.kd
    .uniform_work_group_size: 1
    .uses_dynamic_stack: false
    .vgpr_count:     18
    .vgpr_spill_count: 0
    .wavefront_size: 64
  - .args:
      - .offset:         0
        .size:           4
        .value_kind:     by_value
      - .offset:         4
        .size:           4
        .value_kind:     by_value
      - .address_space:  global
        .offset:         8
        .size:           8
        .value_kind:     global_buffer
      - .offset:         16
        .size:           8
        .value_kind:     by_value
      - .offset:         24
        .size:           4
        .value_kind:     by_value
      - .offset:         32
        .size:           8
        .value_kind:     by_value
      - .offset:         40
        .size:           4
        .value_kind:     by_value
      - .address_space:  global
        .offset:         48
        .size:           8
        .value_kind:     global_buffer
    .group_segment_fixed_size: 512
    .kernarg_segment_align: 8
    .kernarg_segment_size: 56
    .language:       OpenCL C
    .language_version:
      - 2
      - 0
    .max_flat_workgroup_size: 1024
    .name:           _ZL32rocblas_iamax_iamin_kernel_part1ILi1024E23rocblas_fetch_amax_aminIfE19rocblas_reduce_aminPK19rocblas_complex_numIfE21rocblas_index_value_tIfEEviiT2_liliPT3_
    .private_segment_fixed_size: 0
    .sgpr_count:     20
    .sgpr_spill_count: 0
    .symbol:         _ZL32rocblas_iamax_iamin_kernel_part1ILi1024E23rocblas_fetch_amax_aminIfE19rocblas_reduce_aminPK19rocblas_complex_numIfE21rocblas_index_value_tIfEEviiT2_liliPT3_.kd
    .uniform_work_group_size: 1
    .uses_dynamic_stack: false
    .vgpr_count:     14
    .vgpr_spill_count: 0
    .wavefront_size: 64
  - .args:
      - .offset:         0
        .size:           4
        .value_kind:     by_value
      - .offset:         4
        .size:           4
        .value_kind:     by_value
      - .address_space:  global
        .offset:         8
        .size:           8
        .value_kind:     global_buffer
      - .offset:         16
        .size:           8
        .value_kind:     by_value
      - .offset:         24
        .size:           4
        .value_kind:     by_value
      - .offset:         32
        .size:           8
        .value_kind:     by_value
      - .offset:         40
        .size:           4
        .value_kind:     by_value
      - .address_space:  global
        .offset:         48
        .size:           8
        .value_kind:     global_buffer
    .group_segment_fixed_size: 1024
    .kernarg_segment_align: 8
    .kernarg_segment_size: 56
    .language:       OpenCL C
    .language_version:
      - 2
      - 0
    .max_flat_workgroup_size: 1024
    .name:           _ZL32rocblas_iamax_iamin_kernel_part1ILi1024E23rocblas_fetch_amax_aminIdE19rocblas_reduce_aminPK19rocblas_complex_numIdE21rocblas_index_value_tIdEEviiT2_liliPT3_
    .private_segment_fixed_size: 0
    .sgpr_count:     20
    .sgpr_spill_count: 0
    .symbol:         _ZL32rocblas_iamax_iamin_kernel_part1ILi1024E23rocblas_fetch_amax_aminIdE19rocblas_reduce_aminPK19rocblas_complex_numIdE21rocblas_index_value_tIdEEviiT2_liliPT3_.kd
    .uniform_work_group_size: 1
    .uses_dynamic_stack: false
    .vgpr_count:     18
    .vgpr_spill_count: 0
    .wavefront_size: 64
  - .args:
      - .offset:         0
        .size:           4
        .value_kind:     by_value
      - .offset:         4
        .size:           4
        .value_kind:     by_value
      - .address_space:  global
        .offset:         8
        .size:           8
        .value_kind:     global_buffer
      - .offset:         16
        .size:           8
        .value_kind:     by_value
      - .offset:         24
        .size:           4
        .value_kind:     by_value
      - .offset:         32
        .size:           8
        .value_kind:     by_value
      - .offset:         40
        .size:           4
        .value_kind:     by_value
      - .address_space:  global
        .offset:         48
        .size:           8
        .value_kind:     global_buffer
    .group_segment_fixed_size: 512
    .kernarg_segment_align: 8
    .kernarg_segment_size: 56
    .language:       OpenCL C
    .language_version:
      - 2
      - 0
    .max_flat_workgroup_size: 1024
    .name:           _ZL32rocblas_iamax_iamin_kernel_part1ILi1024E23rocblas_fetch_amax_aminIfE19rocblas_reduce_aminPKPKf21rocblas_index_value_tIfEEviiT2_liliPT3_
    .private_segment_fixed_size: 0
    .sgpr_count:     24
    .sgpr_spill_count: 0
    .symbol:         _ZL32rocblas_iamax_iamin_kernel_part1ILi1024E23rocblas_fetch_amax_aminIfE19rocblas_reduce_aminPKPKf21rocblas_index_value_tIfEEviiT2_liliPT3_.kd
    .uniform_work_group_size: 1
    .uses_dynamic_stack: false
    .vgpr_count:     14
    .vgpr_spill_count: 0
    .wavefront_size: 64
  - .args:
      - .offset:         0
        .size:           4
        .value_kind:     by_value
      - .offset:         4
        .size:           4
        .value_kind:     by_value
      - .address_space:  global
        .offset:         8
        .size:           8
        .value_kind:     global_buffer
      - .offset:         16
        .size:           8
        .value_kind:     by_value
      - .offset:         24
        .size:           4
        .value_kind:     by_value
      - .offset:         32
        .size:           8
        .value_kind:     by_value
      - .offset:         40
        .size:           4
        .value_kind:     by_value
      - .address_space:  global
        .offset:         48
        .size:           8
        .value_kind:     global_buffer
    .group_segment_fixed_size: 1024
    .kernarg_segment_align: 8
    .kernarg_segment_size: 56
    .language:       OpenCL C
    .language_version:
      - 2
      - 0
    .max_flat_workgroup_size: 1024
    .name:           _ZL32rocblas_iamax_iamin_kernel_part1ILi1024E23rocblas_fetch_amax_aminIdE19rocblas_reduce_aminPKPKd21rocblas_index_value_tIdEEviiT2_liliPT3_
    .private_segment_fixed_size: 0
    .sgpr_count:     24
    .sgpr_spill_count: 0
    .symbol:         _ZL32rocblas_iamax_iamin_kernel_part1ILi1024E23rocblas_fetch_amax_aminIdE19rocblas_reduce_aminPKPKd21rocblas_index_value_tIdEEviiT2_liliPT3_.kd
    .uniform_work_group_size: 1
    .uses_dynamic_stack: false
    .vgpr_count:     18
    .vgpr_spill_count: 0
    .wavefront_size: 64
  - .args:
      - .offset:         0
        .size:           4
        .value_kind:     by_value
      - .offset:         4
        .size:           4
        .value_kind:     by_value
      - .address_space:  global
        .offset:         8
        .size:           8
        .value_kind:     global_buffer
      - .offset:         16
        .size:           8
        .value_kind:     by_value
      - .offset:         24
        .size:           4
        .value_kind:     by_value
      - .offset:         32
        .size:           8
        .value_kind:     by_value
      - .offset:         40
        .size:           4
        .value_kind:     by_value
      - .address_space:  global
        .offset:         48
        .size:           8
        .value_kind:     global_buffer
    .group_segment_fixed_size: 512
    .kernarg_segment_align: 8
    .kernarg_segment_size: 56
    .language:       OpenCL C
    .language_version:
      - 2
      - 0
    .max_flat_workgroup_size: 1024
    .name:           _ZL32rocblas_iamax_iamin_kernel_part1ILi1024E23rocblas_fetch_amax_aminIfE19rocblas_reduce_aminPKPK19rocblas_complex_numIfE21rocblas_index_value_tIfEEviiT2_liliPT3_
    .private_segment_fixed_size: 0
    .sgpr_count:     24
    .sgpr_spill_count: 0
    .symbol:         _ZL32rocblas_iamax_iamin_kernel_part1ILi1024E23rocblas_fetch_amax_aminIfE19rocblas_reduce_aminPKPK19rocblas_complex_numIfE21rocblas_index_value_tIfEEviiT2_liliPT3_.kd
    .uniform_work_group_size: 1
    .uses_dynamic_stack: false
    .vgpr_count:     14
    .vgpr_spill_count: 0
    .wavefront_size: 64
  - .args:
      - .offset:         0
        .size:           4
        .value_kind:     by_value
      - .offset:         4
        .size:           4
        .value_kind:     by_value
      - .address_space:  global
        .offset:         8
        .size:           8
        .value_kind:     global_buffer
      - .offset:         16
        .size:           8
        .value_kind:     by_value
      - .offset:         24
        .size:           4
        .value_kind:     by_value
      - .offset:         32
        .size:           8
        .value_kind:     by_value
      - .offset:         40
        .size:           4
        .value_kind:     by_value
      - .address_space:  global
        .offset:         48
        .size:           8
        .value_kind:     global_buffer
    .group_segment_fixed_size: 1024
    .kernarg_segment_align: 8
    .kernarg_segment_size: 56
    .language:       OpenCL C
    .language_version:
      - 2
      - 0
    .max_flat_workgroup_size: 1024
    .name:           _ZL32rocblas_iamax_iamin_kernel_part1ILi1024E23rocblas_fetch_amax_aminIdE19rocblas_reduce_aminPKPK19rocblas_complex_numIdE21rocblas_index_value_tIdEEviiT2_liliPT3_
    .private_segment_fixed_size: 0
    .sgpr_count:     24
    .sgpr_spill_count: 0
    .symbol:         _ZL32rocblas_iamax_iamin_kernel_part1ILi1024E23rocblas_fetch_amax_aminIdE19rocblas_reduce_aminPKPK19rocblas_complex_numIdE21rocblas_index_value_tIdEEviiT2_liliPT3_.kd
    .uniform_work_group_size: 1
    .uses_dynamic_stack: false
    .vgpr_count:     18
    .vgpr_spill_count: 0
    .wavefront_size: 64
amdhsa.target:   amdgcn-amd-amdhsa--gfx906
amdhsa.version:
  - 1
  - 2
...

	.end_amdgpu_metadata
